;; amdgpu-corpus repo=ROCm/rocFFT kind=compiled arch=gfx906 opt=O3
	.text
	.amdgcn_target "amdgcn-amd-amdhsa--gfx906"
	.amdhsa_code_object_version 6
	.protected	bluestein_single_back_len182_dim1_half_op_CI_CI ; -- Begin function bluestein_single_back_len182_dim1_half_op_CI_CI
	.globl	bluestein_single_back_len182_dim1_half_op_CI_CI
	.p2align	8
	.type	bluestein_single_back_len182_dim1_half_op_CI_CI,@function
bluestein_single_back_len182_dim1_half_op_CI_CI: ; @bluestein_single_back_len182_dim1_half_op_CI_CI
; %bb.0:
	s_load_dwordx4 s[12:15], s[4:5], 0x28
	v_mul_u32_u24_e32 v1, 0x13b2, v0
	v_lshrrev_b32_e32 v2, 16, v1
	v_lshl_add_u32 v8, s6, 2, v2
	v_mov_b32_e32 v9, 0
	s_waitcnt lgkmcnt(0)
	v_cmp_gt_u64_e32 vcc, s[12:13], v[8:9]
	s_and_saveexec_b64 s[0:1], vcc
	s_cbranch_execz .LBB0_15
; %bb.1:
	s_load_dwordx4 s[8:11], s[4:5], 0x18
	s_load_dwordx2 s[6:7], s[4:5], 0x0
	v_mul_lo_u16_e32 v1, 13, v2
	v_sub_u16_e32 v52, v0, v1
	v_lshlrev_b32_e32 v35, 2, v52
	s_waitcnt lgkmcnt(0)
	s_load_dwordx4 s[0:3], s[8:9], 0x0
	v_or_b32_e32 v42, 0x70, v52
	v_mov_b32_e32 v16, 0x70
	s_load_dwordx2 s[12:13], s[4:5], 0x38
	s_waitcnt lgkmcnt(0)
	v_mad_u64_u32 v[0:1], s[8:9], s2, v8, 0
	v_mad_u64_u32 v[3:4], s[8:9], s0, v52, 0
	v_mad_u64_u32 v[5:6], s[2:3], s3, v8, v[1:2]
	s_load_dwordx4 s[8:11], s[10:11], 0x0
	v_and_b32_e32 v2, 3, v2
	v_mad_u64_u32 v[6:7], s[2:3], s1, v52, v[4:5]
	v_mov_b32_e32 v1, v5
	v_lshlrev_b64 v[0:1], 2, v[0:1]
	v_mov_b32_e32 v4, v6
	v_mov_b32_e32 v7, s15
	v_add_co_u32_e32 v0, vcc, s14, v0
	v_lshlrev_b64 v[3:4], 2, v[3:4]
	v_addc_co_u32_e32 v1, vcc, v7, v1, vcc
	v_add_co_u32_e32 v3, vcc, v0, v3
	s_mul_i32 s2, s1, 56
	s_mul_hi_u32 s3, s0, 56
	v_addc_co_u32_e32 v4, vcc, v1, v4, vcc
	s_add_i32 s14, s3, s2
	s_mul_i32 s15, s0, 56
	v_mov_b32_e32 v6, s14
	v_add_co_u32_e32 v5, vcc, s15, v3
	v_addc_co_u32_e32 v6, vcc, v4, v6, vcc
	global_load_dword v11, v[3:4], off
	global_load_dword v12, v[5:6], off
	global_load_dword v53, v35, s[6:7]
	global_load_dword v51, v35, s[6:7] offset:56
	v_mov_b32_e32 v4, s14
	v_add_co_u32_e32 v3, vcc, s15, v5
	v_addc_co_u32_e32 v4, vcc, v6, v4, vcc
	v_mov_b32_e32 v6, s14
	v_add_co_u32_e32 v5, vcc, s15, v3
	v_addc_co_u32_e32 v6, vcc, v4, v6, vcc
	;; [unrolled: 3-line block ×3, first 2 shown]
	global_load_dword v13, v[3:4], off
	global_load_dword v14, v[5:6], off
	;; [unrolled: 1-line block ×3, first 2 shown]
	global_load_dword v50, v35, s[6:7] offset:112
	global_load_dword v49, v35, s[6:7] offset:168
	;; [unrolled: 1-line block ×3, first 2 shown]
	v_mov_b32_e32 v4, s14
	v_add_co_u32_e32 v3, vcc, s15, v9
	v_addc_co_u32_e32 v4, vcc, v10, v4, vcc
	global_load_dword v9, v[3:4], off
	v_mov_b32_e32 v5, s14
	v_add_co_u32_e32 v3, vcc, s15, v3
	global_load_dword v47, v35, s[6:7] offset:280
	v_addc_co_u32_e32 v4, vcc, v4, v5, vcc
	v_mad_u64_u32 v[5:6], s[2:3], s0, v42, 0
	global_load_dword v10, v[3:4], off
	v_add_co_u32_e32 v3, vcc, s15, v3
	v_addc_co_u32_e32 v4, vcc, v4, v7, vcc
	v_mad_u64_u32 v[6:7], s[2:3], s1, v42, v[6:7]
	global_load_dword v7, v[3:4], off
	global_load_dword v46, v35, s[6:7] offset:336
	global_load_dword v45, v35, s[6:7] offset:392
	v_mad_u64_u32 v[3:4], s[2:3], s0, v16, v[3:4]
	v_lshlrev_b64 v[5:6], 2, v[5:6]
	s_mul_i32 s2, s1, 0x70
	v_add_co_u32_e32 v5, vcc, v0, v5
	v_addc_co_u32_e32 v6, vcc, v1, v6, vcc
	global_load_dword v16, v[5:6], off
	global_load_dword v44, v35, s[6:7] offset:448
	v_add_u32_e32 v4, s2, v4
	global_load_dword v5, v[3:4], off
	v_mov_b32_e32 v6, s14
	v_add_co_u32_e32 v3, vcc, s15, v3
	v_addc_co_u32_e32 v4, vcc, v4, v6, vcc
	global_load_dword v6, v[3:4], off
	global_load_dword v43, v35, s[6:7] offset:504
	global_load_dword v41, v35, s[6:7] offset:560
	v_mov_b32_e32 v17, s14
	v_add_co_u32_e32 v3, vcc, s15, v3
	v_addc_co_u32_e32 v4, vcc, v4, v17, vcc
	global_load_dword v17, v[3:4], off
	global_load_dword v40, v35, s[6:7] offset:616
	v_mov_b32_e32 v18, s14
	v_add_co_u32_e32 v3, vcc, s15, v3
	v_addc_co_u32_e32 v4, vcc, v4, v18, vcc
	global_load_dword v19, v[3:4], off
	global_load_dword v38, v35, s[6:7] offset:672
	v_mul_u32_u24_e32 v36, 0xb6, v2
	v_lshlrev_b32_e32 v37, 2, v36
	v_add_u32_e32 v39, v37, v35
	v_cmp_eq_u16_e32 vcc, 0, v52
	s_waitcnt vmcnt(25)
	v_lshrrev_b32_e32 v2, 16, v11
	s_waitcnt vmcnt(23)
	v_mul_f16_sdwa v3, v53, v11 dst_sel:DWORD dst_unused:UNUSED_PAD src0_sel:WORD_1 src1_sel:DWORD
	v_mul_f16_sdwa v18, v53, v2 dst_sel:DWORD dst_unused:UNUSED_PAD src0_sel:WORD_1 src1_sel:DWORD
	v_fma_f16 v2, v53, v2, -v3
	v_lshrrev_b32_e32 v3, 16, v12
	v_fma_f16 v18, v53, v11, v18
	s_waitcnt vmcnt(22)
	v_mul_f16_sdwa v4, v51, v3 dst_sel:DWORD dst_unused:UNUSED_PAD src0_sel:WORD_1 src1_sel:DWORD
	v_mul_f16_sdwa v11, v51, v12 dst_sel:DWORD dst_unused:UNUSED_PAD src0_sel:WORD_1 src1_sel:DWORD
	v_fma_f16 v4, v51, v12, v4
	v_fma_f16 v3, v51, v3, -v11
	v_pack_b32_f16 v2, v18, v2
	v_pack_b32_f16 v3, v4, v3
	ds_write2_b32 v39, v2, v3 offset1:14
	s_waitcnt vmcnt(21)
	v_lshrrev_b32_e32 v2, 16, v13
	s_waitcnt vmcnt(18)
	v_mul_f16_sdwa v3, v50, v2 dst_sel:DWORD dst_unused:UNUSED_PAD src0_sel:WORD_1 src1_sel:DWORD
	v_mul_f16_sdwa v4, v50, v13 dst_sel:DWORD dst_unused:UNUSED_PAD src0_sel:WORD_1 src1_sel:DWORD
	v_fma_f16 v3, v50, v13, v3
	v_fma_f16 v2, v50, v2, -v4
	v_pack_b32_f16 v3, v3, v2
	v_lshrrev_b32_e32 v2, 16, v14
	s_waitcnt vmcnt(17)
	v_mul_f16_sdwa v4, v49, v2 dst_sel:DWORD dst_unused:UNUSED_PAD src0_sel:WORD_1 src1_sel:DWORD
	v_mul_f16_sdwa v11, v49, v14 dst_sel:DWORD dst_unused:UNUSED_PAD src0_sel:WORD_1 src1_sel:DWORD
	v_fma_f16 v4, v49, v14, v4
	v_fma_f16 v11, v49, v2, -v11
	v_pack_b32_f16 v4, v4, v11
	ds_write2_b32 v39, v3, v4 offset0:28 offset1:42
	v_lshrrev_b32_e32 v3, 16, v15
	s_waitcnt vmcnt(16)
	v_mul_f16_sdwa v4, v48, v3 dst_sel:DWORD dst_unused:UNUSED_PAD src0_sel:WORD_1 src1_sel:DWORD
	v_mul_f16_sdwa v11, v48, v15 dst_sel:DWORD dst_unused:UNUSED_PAD src0_sel:WORD_1 src1_sel:DWORD
	v_fma_f16 v4, v48, v15, v4
	v_fma_f16 v3, v48, v3, -v11
	v_pack_b32_f16 v3, v4, v3
	s_waitcnt vmcnt(15)
	v_lshrrev_b32_e32 v4, 16, v9
	s_waitcnt vmcnt(14)
	v_mul_f16_sdwa v11, v47, v4 dst_sel:DWORD dst_unused:UNUSED_PAD src0_sel:WORD_1 src1_sel:DWORD
	v_fma_f16 v11, v47, v9, v11
	v_mul_f16_sdwa v9, v47, v9 dst_sel:DWORD dst_unused:UNUSED_PAD src0_sel:WORD_1 src1_sel:DWORD
	v_fma_f16 v4, v47, v4, -v9
	v_pack_b32_f16 v4, v11, v4
	ds_write2_b32 v39, v3, v4 offset0:56 offset1:70
	s_waitcnt vmcnt(13)
	v_lshrrev_b32_e32 v3, 16, v10
	s_waitcnt vmcnt(11)
	v_mul_f16_sdwa v4, v46, v3 dst_sel:DWORD dst_unused:UNUSED_PAD src0_sel:WORD_1 src1_sel:DWORD
	v_mul_f16_sdwa v9, v46, v10 dst_sel:DWORD dst_unused:UNUSED_PAD src0_sel:WORD_1 src1_sel:DWORD
	v_fma_f16 v4, v46, v10, v4
	v_fma_f16 v3, v46, v3, -v9
	v_pack_b32_f16 v3, v4, v3
	v_lshrrev_b32_e32 v4, 16, v7
	s_waitcnt vmcnt(10)
	v_mul_f16_sdwa v9, v45, v4 dst_sel:DWORD dst_unused:UNUSED_PAD src0_sel:WORD_1 src1_sel:DWORD
	v_fma_f16 v9, v45, v7, v9
	v_mul_f16_sdwa v7, v45, v7 dst_sel:DWORD dst_unused:UNUSED_PAD src0_sel:WORD_1 src1_sel:DWORD
	v_fma_f16 v4, v45, v4, -v7
	v_pack_b32_f16 v4, v9, v4
	ds_write2_b32 v39, v3, v4 offset0:84 offset1:98
	s_waitcnt vmcnt(9)
	v_lshrrev_b32_e32 v3, 16, v16
	s_waitcnt vmcnt(8)
	v_mul_f16_sdwa v4, v44, v3 dst_sel:DWORD dst_unused:UNUSED_PAD src0_sel:WORD_1 src1_sel:DWORD
	v_mul_f16_sdwa v7, v44, v16 dst_sel:DWORD dst_unused:UNUSED_PAD src0_sel:WORD_1 src1_sel:DWORD
	v_fma_f16 v4, v44, v16, v4
	v_fma_f16 v3, v44, v3, -v7
	v_pack_b32_f16 v3, v4, v3
	s_waitcnt vmcnt(7)
	v_lshrrev_b32_e32 v4, 16, v5
	s_waitcnt vmcnt(5)
	v_mul_f16_sdwa v7, v43, v4 dst_sel:DWORD dst_unused:UNUSED_PAD src0_sel:WORD_1 src1_sel:DWORD
	v_fma_f16 v7, v43, v5, v7
	v_mul_f16_sdwa v5, v43, v5 dst_sel:DWORD dst_unused:UNUSED_PAD src0_sel:WORD_1 src1_sel:DWORD
	v_fma_f16 v4, v43, v4, -v5
	v_pack_b32_f16 v4, v7, v4
	ds_write2_b32 v39, v3, v4 offset0:112 offset1:126
	v_lshrrev_b32_e32 v3, 16, v6
	s_waitcnt vmcnt(4)
	v_mul_f16_sdwa v4, v41, v3 dst_sel:DWORD dst_unused:UNUSED_PAD src0_sel:WORD_1 src1_sel:DWORD
	v_mul_f16_sdwa v5, v41, v6 dst_sel:DWORD dst_unused:UNUSED_PAD src0_sel:WORD_1 src1_sel:DWORD
	v_fma_f16 v4, v41, v6, v4
	v_fma_f16 v3, v41, v3, -v5
	v_pack_b32_f16 v3, v4, v3
	s_waitcnt vmcnt(3)
	v_lshrrev_b32_e32 v4, 16, v17
	s_waitcnt vmcnt(2)
	v_mul_f16_sdwa v5, v40, v4 dst_sel:DWORD dst_unused:UNUSED_PAD src0_sel:WORD_1 src1_sel:DWORD
	v_mul_f16_sdwa v6, v40, v17 dst_sel:DWORD dst_unused:UNUSED_PAD src0_sel:WORD_1 src1_sel:DWORD
	v_fma_f16 v5, v40, v17, v5
	v_fma_f16 v4, v40, v4, -v6
	v_pack_b32_f16 v4, v5, v4
	ds_write2_b32 v39, v3, v4 offset0:140 offset1:154
	s_waitcnt vmcnt(1)
	v_lshrrev_b32_e32 v3, 16, v19
	s_waitcnt vmcnt(0)
	v_mul_f16_sdwa v4, v38, v3 dst_sel:DWORD dst_unused:UNUSED_PAD src0_sel:WORD_1 src1_sel:DWORD
	v_mul_f16_sdwa v5, v38, v19 dst_sel:DWORD dst_unused:UNUSED_PAD src0_sel:WORD_1 src1_sel:DWORD
	v_fma_f16 v4, v38, v19, v4
	v_fma_f16 v3, v38, v3, -v5
	v_mov_b32_e32 v2, s7
	v_pack_b32_f16 v3, v4, v3
	ds_write_b32 v39, v3 offset:672
	s_and_saveexec_b64 s[2:3], vcc
	s_cbranch_execz .LBB0_3
; %bb.2:
	v_mad_u64_u32 v[3:4], s[14:15], s0, 52, v[0:1]
	v_mov_b32_e32 v6, 0x6c
	v_mov_b32_e32 v7, 0
	v_mad_u64_u32 v[4:5], s[14:15], s1, 52, v[4:5]
	v_mad_u64_u32 v[5:6], s[14:15], s0, v6, v[0:1]
	s_mul_i32 s14, s1, 0x6c
	s_mul_i32 s16, s1, 0xa4
	v_add_u32_e32 v6, s14, v6
	global_load_dword v9, v[3:4], off
	global_load_dword v10, v[5:6], off
	v_mov_b32_e32 v3, 0xa4
	v_mad_u64_u32 v[3:4], s[14:15], s0, v3, v[0:1]
	v_mov_b32_e32 v5, 0xdc
	global_load_dword v11, v7, s[6:7] offset:52
	global_load_dword v12, v7, s[6:7] offset:108
	v_mad_u64_u32 v[5:6], s[14:15], s0, v5, v[0:1]
	v_add_u32_e32 v4, s16, v4
	s_mul_i32 s14, s1, 0xdc
	global_load_dword v13, v7, s[6:7] offset:164
	global_load_dword v14, v7, s[6:7] offset:220
	global_load_dword v15, v[3:4], off
	v_mov_b32_e32 v3, 0x114
	v_add_u32_e32 v6, s14, v6
	v_mad_u64_u32 v[3:4], s[14:15], s0, v3, v[0:1]
	v_mov_b32_e32 v16, 0x14c
	global_load_dword v17, v[5:6], off
	v_mad_u64_u32 v[5:6], s[14:15], s0, v16, v[0:1]
	s_mul_i32 s16, s1, 0x114
	v_add_u32_e32 v4, s16, v4
	global_load_dword v16, v[3:4], off
	s_mul_i32 s14, s1, 0x14c
	v_mov_b32_e32 v3, 0x184
	v_add_u32_e32 v6, s14, v6
	v_mad_u64_u32 v[3:4], s[14:15], s0, v3, v[0:1]
	s_mul_i32 s16, s1, 0x184
	global_load_dword v18, v7, s[6:7] offset:276
	global_load_dword v19, v7, s[6:7] offset:332
	v_add_u32_e32 v4, s16, v4
	global_load_dword v20, v[5:6], off
	global_load_dword v21, v[3:4], off
	v_mov_b32_e32 v5, 0x1bc
	v_mad_u64_u32 v[5:6], s[14:15], s0, v5, v[0:1]
	s_mul_i32 s14, s1, 0x1bc
	v_mov_b32_e32 v3, 0x1f4
	v_add_u32_e32 v6, s14, v6
	v_mad_u64_u32 v[3:4], s[14:15], s0, v3, v[0:1]
	global_load_dword v22, v7, s[6:7] offset:388
	global_load_dword v23, v7, s[6:7] offset:444
	global_load_dword v24, v[5:6], off
	s_mul_i32 s14, s1, 0x1f4
	v_mov_b32_e32 v5, 0x22c
	v_add_u32_e32 v4, s14, v4
	v_mad_u64_u32 v[5:6], s[14:15], s0, v5, v[0:1]
	global_load_dword v25, v7, s[6:7] offset:500
	global_load_dword v26, v[3:4], off
	s_mul_i32 s14, s1, 0x22c
	v_mov_b32_e32 v3, 0x264
	v_add_u32_e32 v6, s14, v6
	v_mad_u64_u32 v[3:4], s[14:15], s0, v3, v[0:1]
	global_load_dword v27, v[5:6], off
	global_load_dword v28, v7, s[6:7] offset:556
	s_mul_i32 s14, s1, 0x264
	v_mov_b32_e32 v5, 0x29c
	v_add_u32_e32 v4, s14, v4
	v_mad_u64_u32 v[5:6], s[14:15], s0, v5, v[0:1]
	global_load_dword v29, v[3:4], off
	global_load_dword v30, v7, s[6:7] offset:612
	s_mul_i32 s14, s1, 0x29c
	v_add_u32_e32 v6, s14, v6
	v_mov_b32_e32 v4, 0x2d4
	global_load_dword v5, v[5:6], off
	v_mad_u64_u32 v[0:1], s[14:15], s0, v4, v[0:1]
	global_load_dword v3, v7, s[6:7] offset:668
	s_mul_i32 s0, s1, 0x2d4
	v_add_u32_e32 v1, s0, v1
	global_load_dword v4, v[0:1], off
	global_load_dword v6, v7, s[6:7] offset:724
	s_waitcnt vmcnt(25)
	v_lshrrev_b32_e32 v0, 16, v9
	s_waitcnt vmcnt(23)
	v_mul_f16_sdwa v1, v11, v0 dst_sel:DWORD dst_unused:UNUSED_PAD src0_sel:WORD_1 src1_sel:DWORD
	v_mul_f16_sdwa v7, v11, v9 dst_sel:DWORD dst_unused:UNUSED_PAD src0_sel:WORD_1 src1_sel:DWORD
	v_fma_f16 v1, v11, v9, v1
	v_fma_f16 v0, v11, v0, -v7
	v_pack_b32_f16 v0, v1, v0
	v_lshrrev_b32_e32 v1, 16, v10
	s_waitcnt vmcnt(22)
	v_mul_f16_sdwa v7, v12, v1 dst_sel:DWORD dst_unused:UNUSED_PAD src0_sel:WORD_1 src1_sel:DWORD
	v_mul_f16_sdwa v9, v12, v10 dst_sel:DWORD dst_unused:UNUSED_PAD src0_sel:WORD_1 src1_sel:DWORD
	v_fma_f16 v7, v12, v10, v7
	v_fma_f16 v1, v12, v1, -v9
	v_pack_b32_f16 v1, v7, v1
	ds_write2_b32 v37, v0, v1 offset0:13 offset1:27
	s_waitcnt vmcnt(19)
	v_lshrrev_b32_e32 v0, 16, v15
	v_mul_f16_sdwa v1, v13, v0 dst_sel:DWORD dst_unused:UNUSED_PAD src0_sel:WORD_1 src1_sel:DWORD
	v_mul_f16_sdwa v7, v13, v15 dst_sel:DWORD dst_unused:UNUSED_PAD src0_sel:WORD_1 src1_sel:DWORD
	v_fma_f16 v1, v13, v15, v1
	v_fma_f16 v0, v13, v0, -v7
	v_pack_b32_f16 v0, v1, v0
	s_waitcnt vmcnt(18)
	v_lshrrev_b32_e32 v1, 16, v17
	v_mul_f16_sdwa v7, v14, v1 dst_sel:DWORD dst_unused:UNUSED_PAD src0_sel:WORD_1 src1_sel:DWORD
	v_mul_f16_sdwa v9, v14, v17 dst_sel:DWORD dst_unused:UNUSED_PAD src0_sel:WORD_1 src1_sel:DWORD
	v_fma_f16 v7, v14, v17, v7
	v_fma_f16 v1, v14, v1, -v9
	v_pack_b32_f16 v1, v7, v1
	ds_write2_b32 v37, v0, v1 offset0:41 offset1:55
	s_waitcnt vmcnt(17)
	v_lshrrev_b32_e32 v0, 16, v16
	s_waitcnt vmcnt(16)
	v_mul_f16_sdwa v1, v18, v0 dst_sel:DWORD dst_unused:UNUSED_PAD src0_sel:WORD_1 src1_sel:DWORD
	v_mul_f16_sdwa v7, v18, v16 dst_sel:DWORD dst_unused:UNUSED_PAD src0_sel:WORD_1 src1_sel:DWORD
	v_fma_f16 v1, v18, v16, v1
	v_fma_f16 v0, v18, v0, -v7
	v_pack_b32_f16 v0, v1, v0
	s_waitcnt vmcnt(14)
	v_lshrrev_b32_e32 v1, 16, v20
	v_mul_f16_sdwa v7, v19, v1 dst_sel:DWORD dst_unused:UNUSED_PAD src0_sel:WORD_1 src1_sel:DWORD
	v_mul_f16_sdwa v9, v19, v20 dst_sel:DWORD dst_unused:UNUSED_PAD src0_sel:WORD_1 src1_sel:DWORD
	v_fma_f16 v7, v19, v20, v7
	v_fma_f16 v1, v19, v1, -v9
	v_pack_b32_f16 v1, v7, v1
	ds_write2_b32 v37, v0, v1 offset0:69 offset1:83
	s_waitcnt vmcnt(13)
	v_lshrrev_b32_e32 v0, 16, v21
	s_waitcnt vmcnt(12)
	v_mul_f16_sdwa v1, v22, v0 dst_sel:DWORD dst_unused:UNUSED_PAD src0_sel:WORD_1 src1_sel:DWORD
	v_mul_f16_sdwa v7, v22, v21 dst_sel:DWORD dst_unused:UNUSED_PAD src0_sel:WORD_1 src1_sel:DWORD
	v_fma_f16 v1, v22, v21, v1
	v_fma_f16 v0, v22, v0, -v7
	v_pack_b32_f16 v0, v1, v0
	s_waitcnt vmcnt(10)
	v_lshrrev_b32_e32 v1, 16, v24
	v_mul_f16_sdwa v7, v23, v1 dst_sel:DWORD dst_unused:UNUSED_PAD src0_sel:WORD_1 src1_sel:DWORD
	v_mul_f16_sdwa v9, v23, v24 dst_sel:DWORD dst_unused:UNUSED_PAD src0_sel:WORD_1 src1_sel:DWORD
	v_fma_f16 v7, v23, v24, v7
	v_fma_f16 v1, v23, v1, -v9
	v_pack_b32_f16 v1, v7, v1
	ds_write2_b32 v37, v0, v1 offset0:97 offset1:111
	s_waitcnt vmcnt(8)
	v_lshrrev_b32_e32 v0, 16, v26
	v_mul_f16_sdwa v1, v25, v0 dst_sel:DWORD dst_unused:UNUSED_PAD src0_sel:WORD_1 src1_sel:DWORD
	v_mul_f16_sdwa v7, v25, v26 dst_sel:DWORD dst_unused:UNUSED_PAD src0_sel:WORD_1 src1_sel:DWORD
	v_fma_f16 v1, v25, v26, v1
	v_fma_f16 v0, v25, v0, -v7
	v_pack_b32_f16 v0, v1, v0
	s_waitcnt vmcnt(7)
	v_lshrrev_b32_e32 v1, 16, v27
	s_waitcnt vmcnt(6)
	v_mul_f16_sdwa v7, v28, v1 dst_sel:DWORD dst_unused:UNUSED_PAD src0_sel:WORD_1 src1_sel:DWORD
	v_mul_f16_sdwa v9, v28, v27 dst_sel:DWORD dst_unused:UNUSED_PAD src0_sel:WORD_1 src1_sel:DWORD
	v_fma_f16 v7, v28, v27, v7
	v_fma_f16 v1, v28, v1, -v9
	v_pack_b32_f16 v1, v7, v1
	ds_write2_b32 v37, v0, v1 offset0:125 offset1:139
	s_waitcnt vmcnt(5)
	v_lshrrev_b32_e32 v0, 16, v29
	s_waitcnt vmcnt(4)
	v_mul_f16_sdwa v1, v30, v0 dst_sel:DWORD dst_unused:UNUSED_PAD src0_sel:WORD_1 src1_sel:DWORD
	v_mul_f16_sdwa v7, v30, v29 dst_sel:DWORD dst_unused:UNUSED_PAD src0_sel:WORD_1 src1_sel:DWORD
	v_fma_f16 v1, v30, v29, v1
	v_fma_f16 v0, v30, v0, -v7
	v_pack_b32_f16 v0, v1, v0
	s_waitcnt vmcnt(3)
	v_lshrrev_b32_e32 v1, 16, v5
	s_waitcnt vmcnt(2)
	v_mul_f16_sdwa v7, v3, v1 dst_sel:DWORD dst_unused:UNUSED_PAD src0_sel:WORD_1 src1_sel:DWORD
	v_fma_f16 v7, v3, v5, v7
	v_mul_f16_sdwa v5, v3, v5 dst_sel:DWORD dst_unused:UNUSED_PAD src0_sel:WORD_1 src1_sel:DWORD
	v_fma_f16 v1, v3, v1, -v5
	v_pack_b32_f16 v1, v7, v1
	ds_write2_b32 v37, v0, v1 offset0:153 offset1:167
	s_waitcnt vmcnt(1)
	v_lshrrev_b32_e32 v0, 16, v4
	s_waitcnt vmcnt(0)
	v_mul_f16_sdwa v1, v6, v0 dst_sel:DWORD dst_unused:UNUSED_PAD src0_sel:WORD_1 src1_sel:DWORD
	v_mul_f16_sdwa v3, v6, v4 dst_sel:DWORD dst_unused:UNUSED_PAD src0_sel:WORD_1 src1_sel:DWORD
	v_fma_f16 v1, v6, v4, v1
	v_fma_f16 v0, v6, v0, -v3
	v_pack_b32_f16 v0, v1, v0
	ds_write_b32 v37, v0 offset:724
.LBB0_3:
	s_or_b64 exec, exec, s[2:3]
	s_waitcnt lgkmcnt(0)
	; wave barrier
	s_waitcnt lgkmcnt(0)
	ds_read2_b32 v[19:20], v39 offset1:14
	ds_read2_b32 v[31:32], v39 offset0:28 offset1:42
	ds_read2_b32 v[27:28], v39 offset0:56 offset1:70
	;; [unrolled: 1-line block ×5, first 2 shown]
	ds_read_b32 v62, v39 offset:672
	s_load_dwordx2 s[2:3], s[4:5], 0x8
	v_add_co_u32_e64 v17, s[0:1], s6, v35
	v_addc_co_u32_e64 v18, s[0:1], 0, v2, s[0:1]
	v_mov_b32_e32 v0, 0
                                        ; implicit-def: $vgpr3
                                        ; implicit-def: $vgpr6
                                        ; implicit-def: $vgpr5
                                        ; implicit-def: $vgpr23
                                        ; implicit-def: $vgpr22
                                        ; implicit-def: $vgpr66
	s_and_saveexec_b64 s[0:1], vcc
	s_cbranch_execz .LBB0_5
; %bb.4:
	ds_read2_b32 v[0:1], v37 offset0:13 offset1:27
	ds_read2_b32 v[21:22], v37 offset0:41 offset1:55
	;; [unrolled: 1-line block ×6, first 2 shown]
	ds_read_b32 v66, v37 offset:724
.LBB0_5:
	s_or_b64 exec, exec, s[0:1]
	s_mov_b32 s5, 0xbb7b
	s_waitcnt lgkmcnt(0)
	v_pk_add_f16 v60, v21, v24 neg_lo:[0,1] neg_hi:[0,1]
	s_mov_b32 s14, 0xb5ac
	s_mov_b32 s20, 0xb3a8
	v_pk_add_f16 v55, v24, v21
	v_mul_f16_sdwa v56, v60, s5 dst_sel:DWORD dst_unused:UNUSED_PAD src0_sel:WORD_1 src1_sel:DWORD
	s_mov_b32 s18, 0xbbc4
	v_fma_f16 v63, v55, s14, -v56
	v_fma_f16 v64, v55, s14, v56
	v_mul_f16_sdwa v56, v60, s20 dst_sel:DWORD dst_unused:UNUSED_PAD src0_sel:WORD_1 src1_sel:DWORD
	s_movk_i32 s26, 0x394e
	s_mov_b32 s16, 0xb9fd
	v_fma_f16 v65, v55, s18, -v56
	v_fma_f16 v67, v55, s18, v56
	v_mul_f16_sdwa v56, v60, s26 dst_sel:DWORD dst_unused:UNUSED_PAD src0_sel:WORD_1 src1_sel:DWORD
	s_movk_i32 s17, 0x3bf1
	v_pk_add_f16 v59, v1, v66 neg_lo:[0,1] neg_hi:[0,1]
	s_mov_b32 s23, 0xba95
	s_movk_i32 s0, 0x2fb7
	v_fma_f16 v68, v55, s16, -v56
	v_fma_f16 v69, v55, s16, v56
	v_mul_f16_sdwa v56, v60, s17 dst_sel:DWORD dst_unused:UNUSED_PAD src0_sel:WORD_1 src1_sel:DWORD
	v_pk_add_f16 v61, v22, v23 neg_lo:[0,1] neg_hi:[0,1]
	v_pk_add_f16 v58, v66, v1
	v_mul_f16_sdwa v9, v59, s23 dst_sel:DWORD dst_unused:UNUSED_PAD src0_sel:WORD_1 src1_sel:DWORD
	s_movk_i32 s1, 0x388b
	v_fma_f16 v70, v55, s0, -v56
	v_fma_f16 v71, v55, s0, v56
	v_pk_add_f16 v56, v23, v22
	v_mul_f16_sdwa v57, v61, s20 dst_sel:DWORD dst_unused:UNUSED_PAD src0_sel:WORD_1 src1_sel:DWORD
	s_movk_i32 s27, 0x3b7b
	v_fma_f16 v10, v58, s1, -v9
	s_mov_b32 s22, 0xbbf1
	s_movk_i32 s19, 0x3770
	v_fma_f16 v72, v56, s18, -v57
	v_fma_f16 v73, v56, s18, v57
	v_mul_f16_sdwa v57, v61, s27 dst_sel:DWORD dst_unused:UNUSED_PAD src0_sel:WORD_1 src1_sel:DWORD
	s_movk_i32 s4, 0x3b15
	v_fma_f16 v9, v58, s1, v9
	v_mul_f16_sdwa v11, v59, s22 dst_sel:DWORD dst_unused:UNUSED_PAD src0_sel:WORD_1 src1_sel:DWORD
	v_fma_f16 v74, v56, s14, -v57
	v_fma_f16 v75, v56, s14, v57
	v_mul_f16_sdwa v57, v61, s19 dst_sel:DWORD dst_unused:UNUSED_PAD src0_sel:WORD_1 src1_sel:DWORD
	v_add_f16_e32 v10, v10, v0
	v_pk_add_f16 v54, v19, v20
	v_fma_f16 v12, v58, s0, -v11
	s_mov_b32 s15, 0xb94e
	v_fma_f16 v76, v56, s4, -v57
	v_fma_f16 v77, v56, s4, v57
	v_mul_f16_sdwa v57, v61, s23 dst_sel:DWORD dst_unused:UNUSED_PAD src0_sel:WORD_1 src1_sel:DWORD
	v_add_f16_e32 v10, v63, v10
	v_pk_add_f16 v63, v4, v7 neg_lo:[0,1] neg_hi:[0,1]
	v_add_f16_e32 v9, v9, v0
	v_fma_f16 v11, v58, s0, v11
	v_mul_f16_sdwa v13, v59, s5 dst_sel:DWORD dst_unused:UNUSED_PAD src0_sel:WORD_1 src1_sel:DWORD
	v_mul_f16_sdwa v15, v59, s15 dst_sel:DWORD dst_unused:UNUSED_PAD src0_sel:WORD_1 src1_sel:DWORD
	v_fma_f16 v78, v56, s1, -v57
	v_fma_f16 v79, v56, s1, v57
	v_pk_add_f16 v57, v7, v4
	v_add_f16_e32 v9, v64, v9
	v_mul_f16_sdwa v64, v63, s26 dst_sel:DWORD dst_unused:UNUSED_PAD src0_sel:WORD_1 src1_sel:DWORD
	v_add_f16_e32 v12, v12, v0
	v_pk_add_f16 v54, v54, v31
	v_fma_f16 v14, v58, s14, -v13
	v_fma_f16 v13, v58, s14, v13
	v_fma_f16 v16, v58, s16, -v15
	v_add_f16_e32 v12, v65, v12
	v_fma_f16 v65, v57, s16, -v64
	v_fma_f16 v80, v57, s16, v64
	v_add_f16_e32 v11, v11, v0
	v_mul_f16_sdwa v64, v63, s19 dst_sel:DWORD dst_unused:UNUSED_PAD src0_sel:WORD_1 src1_sel:DWORD
	v_pk_add_f16 v54, v54, v32
	v_fma_f16 v15, v58, s16, v15
	v_add_f16_e32 v11, v67, v11
	v_add_f16_e32 v14, v14, v0
	v_fma_f16 v67, v57, s4, -v64
	v_fma_f16 v81, v57, s4, v64
	v_add_f16_e32 v13, v13, v0
	v_mul_f16_sdwa v64, v63, s22 dst_sel:DWORD dst_unused:UNUSED_PAD src0_sel:WORD_1 src1_sel:DWORD
	v_add_f16_e32 v16, v16, v0
	s_movk_i32 s28, 0x33a8
	v_pk_add_f16 v54, v54, v27
	v_add_f16_e32 v14, v68, v14
	v_add_f16_e32 v13, v69, v13
	;; [unrolled: 1-line block ×3, first 2 shown]
	v_fma_f16 v69, v57, s0, -v64
	v_fma_f16 v70, v57, s0, v64
	v_add_f16_e32 v15, v15, v0
	v_mul_f16_sdwa v64, v63, s28 dst_sel:DWORD dst_unused:UNUSED_PAD src0_sel:WORD_1 src1_sel:DWORD
	v_add_f16_e32 v10, v72, v10
	v_add_f16_e32 v12, v74, v12
	v_pk_add_f16 v68, v5, v6 neg_lo:[0,1] neg_hi:[0,1]
	v_pk_add_f16 v54, v54, v28
	v_add_f16_e32 v15, v71, v15
	v_fma_f16 v71, v57, s18, -v64
	v_fma_f16 v72, v57, s18, v64
	v_add_f16_e32 v9, v73, v9
	v_pk_add_f16 v64, v6, v5
	v_mul_f16_sdwa v73, v68, s17 dst_sel:DWORD dst_unused:UNUSED_PAD src0_sel:WORD_1 src1_sel:DWORD
	v_add_f16_e32 v14, v76, v14
	v_add_f16_e32 v10, v65, v10
	v_mul_f16_sdwa v65, v68, s19 dst_sel:DWORD dst_unused:UNUSED_PAD src0_sel:WORD_1 src1_sel:DWORD
	v_add_f16_e32 v12, v67, v12
	v_pk_add_f16 v67, v2, v3 neg_lo:[0,1] neg_hi:[0,1]
	v_pk_add_f16 v54, v54, v25
	v_add_f16_e32 v11, v75, v11
	v_fma_f16 v74, v64, s0, -v73
	v_fma_f16 v73, v64, s0, v73
	v_add_f16_e32 v13, v77, v13
	v_mul_f16_sdwa v75, v68, s23 dst_sel:DWORD dst_unused:UNUSED_PAD src0_sel:WORD_1 src1_sel:DWORD
	v_add_f16_e32 v15, v79, v15
	v_mul_f16_sdwa v77, v68, s28 dst_sel:DWORD dst_unused:UNUSED_PAD src0_sel:WORD_1 src1_sel:DWORD
	v_add_f16_e32 v9, v80, v9
	v_fma_f16 v79, v64, s4, -v65
	v_fma_f16 v80, v64, s4, v65
	v_pk_add_f16 v65, v3, v2
	v_add_f16_e32 v14, v69, v14
	v_mul_f16_sdwa v69, v67, s19 dst_sel:DWORD dst_unused:UNUSED_PAD src0_sel:WORD_1 src1_sel:DWORD
	v_pk_add_f16 v54, v54, v26
	s_mov_b32 s24, 0xb770
	v_add_f16_e32 v16, v78, v16
	v_fma_f16 v76, v64, s1, -v75
	v_fma_f16 v75, v64, s1, v75
	v_fma_f16 v78, v64, s18, -v77
	v_add_f16_e32 v11, v81, v11
	v_add_f16_e32 v13, v70, v13
	v_fma_f16 v70, v65, s4, -v69
	v_fma_f16 v69, v65, s4, v69
	v_add_f16_e32 v73, v73, v9
	v_pk_add_f16 v54, v54, v29
	v_pk_add_f16 v94, v20, v62 neg_lo:[0,1] neg_hi:[0,1]
	v_add_f16_e32 v16, v71, v16
	v_mul_f16_sdwa v71, v67, s15 dst_sel:DWORD dst_unused:UNUSED_PAD src0_sel:WORD_1 src1_sel:DWORD
	v_add_f16_e32 v11, v75, v11
	v_add_f16_e32 v75, v78, v14
	;; [unrolled: 1-line block ×3, first 2 shown]
	v_pk_add_f16 v54, v54, v30
	v_pk_add_f16 v73, v62, v20
	v_mul_f16_sdwa v95, v94, s24 dst_sel:DWORD dst_unused:UNUSED_PAD src0_sel:WORD_1 src1_sel:DWORD
	v_fma_f16 v77, v64, s18, v77
	v_add_f16_e32 v15, v72, v15
	v_fma_f16 v72, v65, s16, -v71
	v_fma_f16 v71, v65, s16, v71
	v_pk_add_f16 v54, v54, v33
	v_fma_f16 v20, v73, s4, -v95
	s_mov_b32 s29, 0x3b15388b
	s_movk_i32 s21, 0x3a95
	v_add_f16_e32 v77, v77, v13
	v_add_f16_e32 v13, v71, v11
	v_pk_add_f16 v71, v54, v34
	v_add_f16_e32 v54, v19, v20
	v_pk_mul_f16 v20, v73, s29
	s_mov_b32 s29, 0xba95b770
	v_mul_f16_sdwa v9, v67, s21 dst_sel:DWORD dst_unused:UNUSED_PAD src0_sel:WORD_1 src1_sel:DWORD
	s_mov_b32 s25, 0xffff
	v_pk_fma_f16 v96, v94, s29, v20 op_sel:[0,0,1] op_sel_hi:[1,1,0] neg_lo:[1,0,0] neg_hi:[1,0,0]
	v_pk_fma_f16 v97, v94, s29, v20 op_sel:[0,0,1] op_sel_hi:[1,1,0]
	v_add_f16_e32 v10, v74, v10
	v_add_f16_e32 v12, v76, v12
	v_fma_f16 v74, v65, s1, -v9
	v_fma_f16 v76, v65, s1, v9
	v_mul_f16_sdwa v9, v67, s5 dst_sel:DWORD dst_unused:UNUSED_PAD src0_sel:WORD_1 src1_sel:DWORD
	v_bfi_b32 v20, s25, v97, v96
	v_fma_f16 v78, v65, s14, -v9
	v_fma_f16 v81, v65, s14, v9
	v_add_f16_e32 v9, v70, v10
	v_add_f16_e32 v10, v72, v12
	v_pk_add_f16 v72, v19, v20 op_sel:[1,0] op_sel_hi:[0,1]
	v_pk_add_f16 v20, v31, v34 neg_lo:[0,1] neg_hi:[0,1]
	v_pk_add_f16 v69, v34, v31
	v_mul_f16_sdwa v70, v20, s23 dst_sel:DWORD dst_unused:UNUSED_PAD src0_sel:WORD_1 src1_sel:DWORD
	v_fma_f16 v31, v69, s1, -v70
	s_mov_b32 s29, 0x388bb5ac
	v_add_f16_e32 v54, v31, v54
	v_pk_add_f16 v34, v33, v32
	v_pk_add_f16 v31, v32, v33 neg_lo:[0,1] neg_hi:[0,1]
	v_pk_add_f16 v32, v30, v27
	v_pk_add_f16 v27, v27, v30 neg_lo:[0,1] neg_hi:[0,1]
	v_pk_add_f16 v30, v29, v28
	v_pk_add_f16 v28, v28, v29 neg_lo:[0,1] neg_hi:[0,1]
	v_pk_mul_f16 v29, v69, s29
	s_mov_b32 s29, 0xbb7bba95
	v_pk_fma_f16 v33, v20, s29, v29 op_sel:[0,0,1] op_sel_hi:[1,1,0] neg_lo:[1,0,0] neg_hi:[1,0,0]
	v_pk_fma_f16 v85, v20, s29, v29 op_sel:[0,0,1] op_sel_hi:[1,1,0]
	v_bfi_b32 v29, s25, v85, v33
	v_lshrrev_b32_e32 v98, 16, v73
	v_mul_f16_e32 v99, 0xba95, v94
	v_pk_add_f16 v29, v29, v72
	v_fma_f16 v72, v98, s1, v99
	v_lshrrev_b32_e32 v82, 16, v69
	v_mul_f16_e32 v90, 0xbb7b, v20
	v_add_f16_e32 v11, v74, v75
	v_add_f16_sdwa v72, v19, v72 dst_sel:DWORD dst_unused:UNUSED_PAD src0_sel:WORD_1 src1_sel:DWORD
	v_fma_f16 v74, v82, s14, v90
	v_mul_f16_sdwa v83, v31, s22 dst_sel:DWORD dst_unused:UNUSED_PAD src0_sel:WORD_1 src1_sel:DWORD
	s_mov_b32 s29, 0x2fb7bbc4
	v_add_f16_e32 v74, v74, v72
	v_fma_f16 v72, v34, s0, -v83
	s_mov_b32 s30, 0xb3a8bbf1
	v_pk_mul_f16 v75, v34, s29
	v_add_f16_e32 v54, v72, v54
	v_pk_fma_f16 v72, v31, s30, v75 op_sel:[0,0,1] op_sel_hi:[1,1,0] neg_lo:[1,0,0] neg_hi:[1,0,0]
	v_pk_fma_f16 v86, v31, s30, v75 op_sel:[0,0,1] op_sel_hi:[1,1,0]
	v_add_f16_e32 v15, v80, v15
	v_bfi_b32 v75, s25, v86, v72
	v_lshrrev_b32_e32 v80, 16, v34
	v_mul_f16_e32 v89, 0xb3a8, v31
	v_add_f16_e32 v15, v81, v15
	v_pk_add_f16 v29, v75, v29
	v_fma_f16 v75, v80, s18, v89
	v_mul_f16_sdwa v81, v27, s5 dst_sel:DWORD dst_unused:UNUSED_PAD src0_sel:WORD_1 src1_sel:DWORD
	s_mov_b32 s29, 0xb5acb9fd
	v_add_f16_e32 v79, v79, v16
	v_add_f16_e32 v16, v76, v77
	v_add_f16_e32 v75, v75, v74
	v_fma_f16 v74, v32, s14, -v81
	s_mov_b32 s30, 0x394ebb7b
	v_pk_mul_f16 v76, v32, s29
	v_add_f16_e32 v54, v74, v54
	v_pk_fma_f16 v74, v27, s30, v76 op_sel:[0,0,1] op_sel_hi:[1,1,0] neg_lo:[1,0,0] neg_hi:[1,0,0]
	v_pk_fma_f16 v84, v27, s30, v76 op_sel:[0,0,1] op_sel_hi:[1,1,0]
	v_bfi_b32 v76, s25, v84, v74
	v_lshrrev_b32_e32 v77, 16, v32
	v_mul_f16_e32 v87, 0x394e, v27
	v_add_f16_e32 v12, v78, v79
	v_pk_add_f16 v76, v76, v29
	v_fma_f16 v29, v77, s16, v87
	v_mul_f16_sdwa v78, v28, s15 dst_sel:DWORD dst_unused:UNUSED_PAD src0_sel:WORD_1 src1_sel:DWORD
	v_add_f16_e32 v91, v29, v75
	v_fma_f16 v29, v30, s16, -v78
	s_mov_b32 s29, 0xb9fd2fb7
	v_add_f16_e32 v54, v29, v54
	s_mov_b32 s30, 0x3bf1b94e
	v_pk_mul_f16 v29, v30, s29
	v_pk_fma_f16 v75, v28, s30, v29 op_sel:[0,0,1] op_sel_hi:[1,1,0] neg_lo:[1,0,0] neg_hi:[1,0,0]
	v_pk_fma_f16 v29, v28, s30, v29 op_sel:[0,0,1] op_sel_hi:[1,1,0]
	v_bfi_b32 v79, s25, v29, v75
	v_pk_add_f16 v92, v79, v76
	v_lshrrev_b32_e32 v79, 16, v30
	v_mul_f16_e32 v88, 0x3bf1, v28
	v_fma_f16 v76, v79, s0, v88
	v_add_f16_e32 v100, v76, v91
	v_pk_add_f16 v76, v26, v25
	v_pk_add_f16 v25, v25, v26 neg_lo:[0,1] neg_hi:[0,1]
	v_mul_f16_sdwa v91, v25, s20 dst_sel:DWORD dst_unused:UNUSED_PAD src0_sel:WORD_1 src1_sel:DWORD
	v_fma_f16 v26, v76, s18, -v91
	s_mov_b32 s30, 0xbbc43b15
	v_add_f16_e32 v54, v26, v54
	s_mov_b32 s29, 0x3770b3a8
	v_pk_mul_f16 v26, v76, s30
	v_pk_fma_f16 v93, v25, s29, v26 op_sel:[0,0,1] op_sel_hi:[1,1,0] neg_lo:[1,0,0] neg_hi:[1,0,0]
	v_pk_fma_f16 v101, v25, s29, v26 op_sel:[0,0,1] op_sel_hi:[1,1,0]
	v_bfi_b32 v101, s25, v101, v93
	v_pk_add_f16 v101, v101, v92
	v_lshrrev_b32_e32 v92, 16, v76
	v_mul_f16_e32 v102, 0x3770, v25
	v_fma_f16 v103, v92, s4, v102
	v_add_f16_e32 v100, v103, v100
	v_alignbit_b32 v100, v100, v101, 16
	v_pack_b32_f16 v101, v54, v101
	v_mul_lo_u16_e32 v54, 13, v52
	v_lshl_add_u32 v54, v54, 2, v37
	s_waitcnt lgkmcnt(0)
	; wave barrier
	ds_write2_b32 v54, v101, v100 offset0:1 offset1:2
	v_mul_f16_sdwa v100, v94, s22 dst_sel:DWORD dst_unused:UNUSED_PAD src0_sel:WORD_1 src1_sel:DWORD
	v_fma_f16 v101, v73, s0, -v100
	v_mul_f16_sdwa v103, v20, s20 dst_sel:DWORD dst_unused:UNUSED_PAD src0_sel:WORD_1 src1_sel:DWORD
	v_add_f16_e32 v101, v19, v101
	v_fma_f16 v104, v69, s18, -v103
	v_add_f16_e32 v101, v104, v101
	v_mul_f16_e32 v104, 0xbbf1, v94
	v_fma_f16 v105, v98, s0, v104
	v_mul_f16_e32 v106, 0xb3a8, v20
	v_add_f16_sdwa v105, v19, v105 dst_sel:DWORD dst_unused:UNUSED_PAD src0_sel:WORD_1 src1_sel:DWORD
	v_fma_f16 v107, v82, s18, v106
	v_add_f16_e32 v105, v107, v105
	v_mul_f16_sdwa v107, v94, s5 dst_sel:DWORD dst_unused:UNUSED_PAD src0_sel:WORD_1 src1_sel:DWORD
	v_fma_f16 v108, v73, s14, -v107
	v_mul_f16_sdwa v109, v20, s26 dst_sel:DWORD dst_unused:UNUSED_PAD src0_sel:WORD_1 src1_sel:DWORD
	v_add_f16_e32 v108, v19, v108
	v_fma_f16 v110, v69, s16, -v109
	v_add_f16_e32 v108, v110, v108
	v_mul_f16_e32 v110, 0xbb7b, v94
	v_fma_f16 v111, v98, s14, v110
	v_mul_f16_e32 v112, 0x394e, v20
	v_add_f16_sdwa v111, v19, v111 dst_sel:DWORD dst_unused:UNUSED_PAD src0_sel:WORD_1 src1_sel:DWORD
	v_fma_f16 v113, v82, s16, v112
	v_add_f16_e32 v111, v113, v111
	v_mul_f16_sdwa v113, v31, s27 dst_sel:DWORD dst_unused:UNUSED_PAD src0_sel:WORD_1 src1_sel:DWORD
	v_fma_f16 v114, v34, s14, -v113
	v_add_f16_e32 v101, v114, v101
	v_mul_f16_e32 v114, 0x3b7b, v31
	v_fma_f16 v115, v80, s14, v114
	v_add_f16_e32 v105, v115, v105
	v_mul_f16_sdwa v115, v31, s19 dst_sel:DWORD dst_unused:UNUSED_PAD src0_sel:WORD_1 src1_sel:DWORD
	v_fma_f16 v116, v34, s4, -v115
	v_add_f16_e32 v108, v116, v108
	v_mul_f16_e32 v116, 0x3770, v31
	v_fma_f16 v117, v80, s4, v116
	v_add_f16_e32 v111, v117, v111
	v_mul_f16_sdwa v117, v27, s19 dst_sel:DWORD dst_unused:UNUSED_PAD src0_sel:WORD_1 src1_sel:DWORD
	v_fma_f16 v118, v32, s4, -v117
	v_add_f16_e32 v101, v118, v101
	v_mul_f16_e32 v118, 0x3770, v27
	v_fma_f16 v119, v77, s4, v118
	v_add_f16_e32 v105, v119, v105
	v_mul_f16_sdwa v119, v27, s22 dst_sel:DWORD dst_unused:UNUSED_PAD src0_sel:WORD_1 src1_sel:DWORD
	v_fma_f16 v120, v32, s0, -v119
	v_add_f16_e32 v108, v120, v108
	v_mul_f16_e32 v120, 0xbbf1, v27
	v_fma_f16 v121, v77, s0, v120
	v_add_f16_e32 v111, v121, v111
	v_mul_f16_sdwa v121, v28, s23 dst_sel:DWORD dst_unused:UNUSED_PAD src0_sel:WORD_1 src1_sel:DWORD
	v_fma_f16 v122, v30, s1, -v121
	v_add_f16_e32 v101, v122, v101
	v_mul_f16_e32 v122, 0xba95, v28
	v_fma_f16 v123, v79, s1, v122
	v_add_f16_e32 v105, v123, v105
	v_mul_f16_sdwa v123, v28, s28 dst_sel:DWORD dst_unused:UNUSED_PAD src0_sel:WORD_1 src1_sel:DWORD
	v_fma_f16 v124, v30, s18, -v123
	v_add_f16_e32 v108, v124, v108
	v_mul_f16_e32 v124, 0x33a8, v28
	v_fma_f16 v125, v79, s18, v124
	v_add_f16_e32 v111, v125, v111
	v_mul_f16_sdwa v125, v25, s15 dst_sel:DWORD dst_unused:UNUSED_PAD src0_sel:WORD_1 src1_sel:DWORD
	v_fma_f16 v126, v76, s16, -v125
	v_add_f16_e32 v101, v126, v101
	v_mul_f16_e32 v126, 0xb9fd, v92
	v_fma_f16 v127, v25, s15, v126
	v_add_f16_e32 v105, v127, v105
	v_mul_f16_sdwa v127, v25, s21 dst_sel:DWORD dst_unused:UNUSED_PAD src0_sel:WORD_1 src1_sel:DWORD
	v_fma_f16 v128, v76, s1, -v127
	v_add_f16_e32 v108, v128, v108
	v_mul_f16_e32 v128, 0x3a95, v25
	v_fma_f16 v129, v92, s1, v128
	v_add_f16_e32 v111, v129, v111
	v_pack_b32_f16 v108, v108, v111
	v_pack_b32_f16 v101, v101, v105
	v_pk_add_f16 v62, v71, v62
	v_mul_f16_sdwa v71, v94, s15 dst_sel:DWORD dst_unused:UNUSED_PAD src0_sel:WORD_1 src1_sel:DWORD
	ds_write2_b32 v54, v101, v108 offset0:3 offset1:4
	v_fma_f16 v101, v73, s16, -v71
	v_mul_f16_sdwa v105, v20, s17 dst_sel:DWORD dst_unused:UNUSED_PAD src0_sel:WORD_1 src1_sel:DWORD
	v_add_f16_e32 v101, v19, v101
	v_fma_f16 v108, v69, s0, -v105
	v_add_f16_e32 v101, v108, v101
	v_mul_f16_e32 v108, 0xb94e, v94
	v_fma_f16 v111, v98, s16, v108
	v_mul_f16_e32 v129, 0x3bf1, v20
	v_add_f16_sdwa v111, v19, v111 dst_sel:DWORD dst_unused:UNUSED_PAD src0_sel:WORD_1 src1_sel:DWORD
	v_fma_f16 v130, v82, s0, v129
	v_add_f16_e32 v111, v130, v111
	v_mul_f16_sdwa v130, v31, s23 dst_sel:DWORD dst_unused:UNUSED_PAD src0_sel:WORD_1 src1_sel:DWORD
	v_fma_f16 v131, v34, s1, -v130
	v_add_f16_e32 v101, v131, v101
	v_mul_f16_e32 v131, 0xba95, v31
	v_fma_f16 v132, v80, s1, v131
	v_add_f16_e32 v111, v132, v111
	v_mul_f16_sdwa v132, v27, s28 dst_sel:DWORD dst_unused:UNUSED_PAD src0_sel:WORD_1 src1_sel:DWORD
	v_fma_f16 v133, v32, s18, -v132
	v_add_f16_e32 v101, v133, v101
	v_mul_f16_e32 v133, 0x33a8, v27
	;; [unrolled: 6-line block ×4, first 2 shown]
	v_fma_f16 v138, v92, s14, v137
	v_add_f16_e32 v111, v138, v111
	v_pack_b32_f16 v101, v101, v111
	ds_write2_b32 v54, v62, v101 offset1:5
	v_fma_f16 v62, v98, s1, -v99
	v_fma_f16 v99, v98, s0, -v104
	v_fma_f16 v95, v73, s4, v95
	v_fma_f16 v100, v73, s0, v100
	;; [unrolled: 1-line block ×4, first 2 shown]
	v_pk_mul_f16 v73, v73, s18 op_sel_hi:[1,0]
	v_fma_f16 v101, v98, s14, -v110
	v_fma_f16 v98, v98, s16, -v108
	v_pk_fma_f16 v107, v94, s20, v73 op_sel:[0,0,1] op_sel_hi:[1,0,0] neg_lo:[1,0,0] neg_hi:[1,0,0]
	v_pk_fma_f16 v73, v94, s20, v73 op_sel:[0,0,1] op_sel_hi:[1,0,0]
	v_add_f16_e32 v94, v19, v95
	v_pk_add_f16 v95, v19, v97 op_sel:[1,0] op_sel_hi:[0,1]
	v_add_f16_sdwa v97, v19, v62 dst_sel:DWORD dst_unused:UNUSED_PAD src0_sel:WORD_1 src1_sel:DWORD
	v_add_f16_e32 v108, v19, v71
	v_lshrrev_b32_e32 v62, 16, v58
	v_mul_f16_e32 v71, 0xba95, v59
	v_mul_f16_e32 v110, 0xbbf1, v59
	v_mul_f16_e32 v138, 0xbb7b, v59
	v_mul_f16_e32 v140, 0xb94e, v59
	v_mul_f16_e32 v142, 0xb3a8, v59
	v_add_f16_e32 v100, v19, v100
	v_add_f16_sdwa v99, v19, v99 dst_sel:DWORD dst_unused:UNUSED_PAD src0_sel:WORD_1 src1_sel:DWORD
	v_add_f16_e32 v104, v19, v104
	v_add_f16_sdwa v101, v19, v101 dst_sel:DWORD dst_unused:UNUSED_PAD src0_sel:WORD_1 src1_sel:DWORD
	v_add_f16_sdwa v98, v19, v98 dst_sel:DWORD dst_unused:UNUSED_PAD src0_sel:WORD_1 src1_sel:DWORD
	;; [unrolled: 1-line block ×3, first 2 shown]
	v_pk_add_f16 v107, v19, v107 op_sel:[1,0] op_sel_hi:[0,1]
	v_pk_add_f16 v19, v19, v73 op_sel:[1,0] op_sel_hi:[0,1]
	v_fma_f16 v73, v62, s1, v71
	v_fma_f16 v71, v62, s1, -v71
	v_fma_f16 v111, v62, s0, v110
	v_fma_f16 v110, v62, s0, -v110
	;; [unrolled: 2-line block ×5, first 2 shown]
	v_mul_f16_sdwa v142, v59, s24 dst_sel:DWORD dst_unused:UNUSED_PAD src0_sel:WORD_1 src1_sel:DWORD
	s_mov_b32 s26, 0xb3a8b770
	v_fma_f16 v144, v58, s4, -v142
	s_mov_b32 s24, 0x3b15bbc4
	v_pk_mul_f16 v59, v59, s26
	v_fma_f16 v142, v58, s4, v142
	v_pk_fma_f16 v145, v58, s24, v59 op_sel:[0,0,1] op_sel_hi:[1,1,0]
	v_pk_fma_f16 v58, v58, s24, v59 op_sel:[0,0,1] op_sel_hi:[1,1,0] neg_lo:[0,0,1] neg_hi:[0,0,1]
	v_add_f16_e32 v59, v144, v0
	v_mul_f16_sdwa v144, v60, s23 dst_sel:DWORD dst_unused:UNUSED_PAD src0_sel:WORD_1 src1_sel:DWORD
	v_fma_f16 v146, v55, s1, -v144
	v_fma_f16 v144, v55, s1, v144
	v_add_f16_e32 v142, v142, v0
	v_add_f16_e32 v59, v146, v59
	;; [unrolled: 1-line block ×3, first 2 shown]
	v_lshrrev_b32_e32 v144, 16, v55
	v_mul_f16_e32 v146, 0xbb7b, v60
	v_fma_f16 v147, v144, s14, v146
	v_fma_f16 v146, v144, s14, -v146
	v_add_f16_sdwa v71, v71, v0 dst_sel:DWORD dst_unused:UNUSED_PAD src0_sel:DWORD src1_sel:WORD_1
	v_add_f16_sdwa v73, v73, v0 dst_sel:DWORD dst_unused:UNUSED_PAD src0_sel:DWORD src1_sel:WORD_1
	v_add_f16_e32 v71, v146, v71
	v_mul_f16_e32 v146, 0xb3a8, v60
	v_add_f16_e32 v73, v147, v73
	v_fma_f16 v147, v144, s18, v146
	v_fma_f16 v146, v144, s18, -v146
	v_add_f16_sdwa v110, v110, v0 dst_sel:DWORD dst_unused:UNUSED_PAD src0_sel:DWORD src1_sel:WORD_1
	v_add_f16_sdwa v111, v111, v0 dst_sel:DWORD dst_unused:UNUSED_PAD src0_sel:DWORD src1_sel:WORD_1
	v_add_f16_e32 v110, v146, v110
	v_mul_f16_e32 v146, 0x394e, v60
	v_add_f16_e32 v111, v147, v111
	;; [unrolled: 7-line block ×3, first 2 shown]
	v_fma_f16 v147, v144, s0, v146
	v_fma_f16 v146, v144, s0, -v146
	v_add_f16_sdwa v140, v140, v0 dst_sel:DWORD dst_unused:UNUSED_PAD src0_sel:DWORD src1_sel:WORD_1
	s_mov_b32 s24, 0x3770ba95
	v_add_f16_sdwa v141, v141, v0 dst_sel:DWORD dst_unused:UNUSED_PAD src0_sel:DWORD src1_sel:WORD_1
	v_add_f16_e32 v140, v146, v140
	s_mov_b32 s23, 0x388b3b15
	v_pk_mul_f16 v146, v60, s24
	v_add_f16_e32 v141, v147, v141
	v_pk_add_f16 v58, v58, v0
	v_pk_fma_f16 v147, v55, s23, v146 op_sel:[0,0,1] op_sel_hi:[1,1,0] neg_lo:[0,0,1] neg_hi:[0,0,1]
	v_pk_add_f16 v58, v147, v58
	v_mul_f16_e32 v147, 0x3770, v60
	v_add_f16_sdwa v60, v62, v0 dst_sel:DWORD dst_unused:UNUSED_PAD src0_sel:DWORD src1_sel:WORD_1
	v_fma_f16 v62, v144, s4, -v147
	v_add_f16_e32 v60, v62, v60
	v_mul_f16_sdwa v62, v61, s22 dst_sel:DWORD dst_unused:UNUSED_PAD src0_sel:WORD_1 src1_sel:DWORD
	v_fma_f16 v148, v56, s0, -v62
	v_fma_f16 v62, v56, s0, v62
	v_add_f16_e32 v59, v148, v59
	v_add_f16_e32 v62, v62, v142
	v_lshrrev_b32_e32 v142, 16, v56
	v_mul_f16_e32 v148, 0xb3a8, v61
	v_fma_f16 v149, v142, s18, v148
	v_fma_f16 v148, v142, s18, -v148
	v_add_f16_e32 v71, v148, v71
	v_mul_f16_e32 v148, 0x3b7b, v61
	v_add_f16_e32 v73, v149, v73
	v_fma_f16 v149, v142, s14, v148
	v_fma_f16 v148, v142, s14, -v148
	v_add_f16_e32 v110, v148, v110
	v_mul_f16_e32 v148, 0x3770, v61
	v_add_f16_e32 v111, v149, v111
	;; [unrolled: 5-line block ×3, first 2 shown]
	v_fma_f16 v149, v142, s1, v148
	v_fma_f16 v148, v142, s1, -v148
	s_mov_b32 s24, 0xb94ebbf1
	v_add_f16_e32 v140, v148, v140
	s_mov_b32 s22, 0x2fb7b9fd
	v_pk_mul_f16 v148, v61, s24
	v_add_f16_e32 v141, v149, v141
	v_pk_fma_f16 v149, v56, s22, v148 op_sel:[0,0,1] op_sel_hi:[1,1,0] neg_lo:[0,0,1] neg_hi:[0,0,1]
	v_pk_add_f16 v58, v149, v58
	v_mul_f16_e32 v149, 0xb94e, v61
	v_fma_f16 v61, v142, s16, -v149
	v_add_f16_e32 v60, v61, v60
	v_mul_f16_sdwa v61, v63, s5 dst_sel:DWORD dst_unused:UNUSED_PAD src0_sel:WORD_1 src1_sel:DWORD
	v_fma_f16 v150, v57, s14, -v61
	v_fma_f16 v61, v57, s14, v61
	v_add_f16_e32 v59, v150, v59
	v_add_f16_e32 v61, v61, v62
	v_lshrrev_b32_e32 v150, 16, v57
	v_mul_f16_e32 v62, 0x394e, v63
	v_fma_f16 v151, v150, s16, v62
	v_fma_f16 v62, v150, s16, -v62
	v_add_f16_e32 v62, v62, v71
	v_mul_f16_e32 v71, 0x3770, v63
	v_add_f16_e32 v73, v151, v73
	v_fma_f16 v151, v150, s4, v71
	v_fma_f16 v71, v150, s4, -v71
	v_add_f16_e32 v71, v71, v110
	v_mul_f16_e32 v110, 0xbbf1, v63
	v_add_f16_e32 v111, v151, v111
	v_fma_f16 v151, v150, s0, v110
	v_fma_f16 v110, v150, s0, -v110
	v_add_f16_e32 v110, v110, v138
	v_mul_f16_e32 v138, 0x33a8, v63
	v_add_f16_e32 v139, v151, v139
	v_fma_f16 v151, v150, s18, v138
	v_fma_f16 v138, v150, s18, -v138
	s_mov_b32 s26, 0x3a95bb7b
	v_add_f16_e32 v138, v138, v140
	s_mov_b32 s24, 0xb5ac388b
	v_pk_mul_f16 v140, v63, s26
	v_add_f16_e32 v141, v151, v141
	v_pk_fma_f16 v151, v57, s24, v140 op_sel:[0,0,1] op_sel_hi:[1,1,0] neg_lo:[0,0,1] neg_hi:[0,0,1]
	v_pk_add_f16 v58, v151, v58
	v_mul_f16_e32 v151, 0x3a95, v63
	v_fma_f16 v63, v150, s1, -v151
	v_add_f16_e32 v60, v63, v60
	v_mul_f16_sdwa v63, v68, s15 dst_sel:DWORD dst_unused:UNUSED_PAD src0_sel:WORD_1 src1_sel:DWORD
	v_fma_f16 v152, v64, s16, -v63
	v_add_f16_e32 v152, v152, v59
	v_fma_f16 v59, v64, s16, v63
	v_add_f16_e32 v59, v59, v61
	v_lshrrev_b32_e32 v153, 16, v64
	v_mul_f16_e32 v61, 0x3bf1, v68
	v_fma_f16 v63, v153, s0, v61
	v_fma_f16 v61, v153, s0, -v61
	v_add_f16_e32 v62, v61, v62
	v_mul_f16_e32 v61, 0xba95, v68
	v_add_f16_e32 v63, v63, v73
	v_fma_f16 v73, v153, s1, v61
	v_fma_f16 v61, v153, s1, -v61
	v_add_f16_e32 v71, v61, v71
	v_mul_f16_e32 v61, 0x33a8, v68
	v_add_f16_e32 v73, v73, v111
	;; [unrolled: 5-line block ×3, first 2 shown]
	v_fma_f16 v139, v153, s4, v61
	s_mov_b32 s27, 0xbb7bb94e
	v_add_f16_e32 v139, v139, v141
	v_fma_f16 v61, v153, s4, -v61
	s_mov_b32 s26, 0xb9fdb5ac
	v_pk_mul_f16 v141, v68, s27
	v_add_f16_e32 v138, v61, v138
	v_pk_fma_f16 v61, v64, s26, v141 op_sel:[0,0,1] op_sel_hi:[1,1,0] neg_lo:[0,0,1] neg_hi:[0,0,1]
	v_mul_f16_e32 v68, 0xbb7b, v68
	v_pk_add_f16 v154, v61, v58
	v_fma_f16 v58, v153, s14, -v68
	v_pk_mul_f16 v156, v55, s23
	v_add_f16_e32 v155, v58, v60
	v_add_f16_sdwa v55, v146, v156 dst_sel:DWORD dst_unused:UNUSED_PAD src0_sel:DWORD src1_sel:WORD_1
	v_add_f16_sdwa v58, v145, v0 dst_sel:DWORD dst_unused:UNUSED_PAD src0_sel:WORD_1 src1_sel:WORD_1
	v_pk_mul_f16 v157, v56, s22
	v_add_f16_e32 v55, v55, v58
	v_add_f16_sdwa v56, v148, v157 dst_sel:DWORD dst_unused:UNUSED_PAD src0_sel:DWORD src1_sel:WORD_1
	v_pk_mul_f16 v158, v57, s24
	v_add_f16_e32 v55, v56, v55
	v_add_f16_sdwa v56, v140, v158 dst_sel:DWORD dst_unused:UNUSED_PAD src0_sel:DWORD src1_sel:WORD_1
	v_pk_mul_f16 v159, v64, s26
	s_mov_b32 s22, 0xbbc42fb7
	s_mov_b32 s23, 0x3bf1b3a8
	v_add_f16_e32 v55, v56, v55
	v_add_f16_sdwa v56, v141, v159 dst_sel:DWORD dst_unused:UNUSED_PAD src0_sel:DWORD src1_sel:WORD_1
	v_pk_mul_f16 v160, v65, s22
	v_pk_mul_f16 v161, v67, s23
	v_add_f16_e32 v55, v56, v55
	v_add_f16_sdwa v56, v161, v160 dst_sel:DWORD dst_unused:UNUSED_PAD src0_sel:DWORD src1_sel:WORD_1
	v_mul_f16_sdwa v162, v67, s20 dst_sel:DWORD dst_unused:UNUSED_PAD src0_sel:WORD_1 src1_sel:DWORD
	v_add_f16_e32 v55, v56, v55
	v_fma_f16 v56, v65, s18, v162
	v_lshrrev_b32_e32 v163, 16, v65
	v_mul_f16_e32 v57, 0x3770, v67
	v_add_f16_e32 v61, v56, v59
	v_fma_f16 v56, v163, s4, v57
	v_fma_f16 v57, v163, s4, -v57
	v_mul_f16_e32 v58, 0xb94e, v67
	v_add_f16_e32 v60, v57, v62
	v_fma_f16 v57, v163, s16, v58
	v_fma_f16 v58, v163, s16, -v58
	v_mul_f16_e32 v59, 0x3a95, v67
	v_add_f16_e32 v57, v57, v73
	v_add_f16_e32 v62, v58, v71
	v_fma_f16 v58, v163, s1, v59
	v_fma_f16 v59, v163, s1, -v59
	v_mul_f16_e32 v73, 0x3b15, v144
	s_mov_b32 s20, 0x5040100
	v_add_f16_e32 v64, v59, v110
	v_fma_f16 v110, v65, s18, -v162
	v_pk_fma_f16 v65, v65, s22, v161 op_sel:[0,0,1] op_sel_hi:[1,1,0] neg_lo:[0,0,1] neg_hi:[0,0,1]
	v_pack_b32_f16 v71, v147, v145
	v_perm_b32 v73, v0, v73, s20
	s_mov_b32 s22, 0x7060302
	v_add_f16_e32 v58, v58, v111
	v_pk_add_f16 v71, v71, v73
	v_pack_b32_f16 v73, v143, v156
	v_perm_b32 v111, v146, v0, s22
	v_pk_add_f16 v73, v73, v111
	v_mul_f16_e32 v111, 0xb9fd, v142
	v_pk_add_f16 v71, v73, v71
	v_pack_b32_f16 v73, v149, v157
	v_bfi_b32 v111, s25, v111, v148
	v_pk_add_f16 v73, v73, v111
	v_mul_f16_e32 v111, 0x388b, v150
	v_pk_add_f16 v71, v73, v71
	v_pack_b32_f16 v73, v151, v158
	v_bfi_b32 v111, s25, v111, v140
	v_pk_add_f16 v73, v73, v111
	v_pk_add_f16 v71, v73, v71
	v_mul_f16_e32 v73, 0xb5ac, v153
	v_pack_b32_f16 v68, v68, v159
	v_bfi_b32 v73, s25, v73, v141
	v_pk_add_f16 v68, v68, v73
	v_add_f16_e32 v56, v56, v63
	v_mul_f16_e32 v63, 0xbb7b, v67
	v_pk_add_f16 v68, v68, v71
	v_mul_f16_e32 v71, 0x2fb7, v163
	v_mul_f16_e32 v67, 0x3bf1, v67
	v_bfi_b32 v71, s25, v71, v161
	v_pack_b32_f16 v73, v67, v160
	v_fma_f16 v67, v163, s0, -v67
	v_pk_add_f16 v71, v73, v71
	v_add_f16_e32 v73, v67, v155
	v_fma_f16 v67, v69, s1, v70
	v_add_f16_e32 v67, v67, v94
	v_fma_f16 v70, v82, s14, -v90
	v_fma_f16 v83, v34, s0, v83
	v_pk_add_f16 v71, v71, v68
	v_pk_add_f16 v68, v85, v95
	v_add_f16_e32 v70, v70, v97
	v_fma_f16 v85, v69, s18, v103
	v_add_f16_e32 v67, v83, v67
	v_fma_f16 v83, v80, s18, -v89
	v_fma_f16 v81, v32, s14, v81
	v_add_f16_e32 v85, v85, v100
	v_fma_f16 v95, v82, s16, -v112
	v_add_f16_e32 v70, v83, v70
	v_fma_f16 v83, v34, s14, v113
	v_add_f16_e32 v67, v81, v67
	v_fma_f16 v81, v77, s16, -v87
	v_fma_f16 v78, v30, s16, v78
	v_fma_f16 v90, v82, s18, -v106
	v_add_f16_e32 v95, v95, v101
	v_fma_f16 v82, v82, s0, -v129
	v_pk_add_f16 v68, v86, v68
	v_add_f16_e32 v83, v83, v85
	v_fma_f16 v89, v80, s4, -v116
	v_add_f16_e32 v70, v81, v70
	v_fma_f16 v81, v32, s4, v117
	v_add_f16_e32 v67, v78, v67
	v_fma_f16 v78, v79, s0, -v88
	v_add_f16_e32 v82, v82, v98
	v_fma_f16 v85, v80, s14, -v114
	;; [unrolled: 2-line block ×3, first 2 shown]
	v_pk_add_f16 v68, v84, v68
	v_add_f16_e32 v81, v81, v83
	v_fma_f16 v84, v77, s0, -v120
	v_add_f16_e32 v70, v78, v70
	v_fma_f16 v78, v30, s1, v121
	v_add_f16_e32 v80, v80, v82
	v_fma_f16 v82, v77, s4, -v118
	v_add_f16_e32 v84, v84, v89
	v_fma_f16 v77, v77, s18, -v133
	;; [unrolled: 2-line block ×3, first 2 shown]
	v_add_f16_e32 v77, v77, v80
	v_add_f16_e32 v81, v81, v84
	v_fma_f16 v84, v79, s1, -v122
	v_fma_f16 v79, v79, s4, -v135
	v_add_f16_e32 v77, v79, v77
	v_fma_f16 v79, v76, s18, v91
	v_fma_f16 v94, v69, s16, v109
	;; [unrolled: 1-line block ×3, first 2 shown]
	v_add_f16_e32 v67, v79, v67
	v_fma_f16 v79, v92, s14, -v137
	v_pk_mul_f16 v69, v69, s4 op_sel_hi:[1,0]
	v_add_f16_e32 v77, v79, v77
	v_pk_fma_f16 v79, v20, s19, v69 op_sel:[0,0,1] op_sel_hi:[1,0,0] neg_lo:[1,0,0] neg_hi:[1,0,0]
	v_pk_fma_f16 v20, v20, s19, v69 op_sel:[0,0,1] op_sel_hi:[1,0,0]
	v_add_f16_e32 v90, v90, v99
	v_pk_add_f16 v19, v20, v19
	v_pk_mul_f16 v20, v34, s16 op_sel_hi:[1,0]
	v_add_f16_e32 v85, v85, v90
	v_fma_f16 v86, v34, s4, v115
	v_fma_f16 v90, v34, s1, v130
	v_pk_fma_f16 v34, v31, s15, v20 op_sel:[0,0,1] op_sel_hi:[1,0,0] neg_lo:[1,0,0] neg_hi:[1,0,0]
	v_pk_fma_f16 v20, v31, s15, v20 op_sel:[0,0,1] op_sel_hi:[1,0,0]
	v_add_f16_e32 v94, v94, v104
	v_pk_add_f16 v19, v20, v19
	v_pk_mul_f16 v20, v32, s1 op_sel_hi:[1,0]
	v_add_f16_e32 v86, v86, v94
	v_fma_f16 v83, v32, s0, v119
	v_pk_fma_f16 v31, v27, s21, v20 op_sel:[0,0,1] op_sel_hi:[1,0,0] neg_lo:[1,0,0] neg_hi:[1,0,0]
	v_pk_fma_f16 v27, v27, s21, v20 op_sel:[0,0,1] op_sel_hi:[1,0,0]
	v_add_f16_e32 v83, v83, v86
	v_fma_f16 v80, v30, s18, v123
	v_pk_add_f16 v79, v79, v107
	v_pk_add_f16 v19, v27, v19
	v_pk_mul_f16 v27, v30, s14 op_sel_hi:[1,0]
	v_add_f16_e32 v97, v97, v108
	v_add_f16_e32 v80, v80, v83
	v_fma_f16 v83, v30, s4, v134
	v_add_f16_e32 v33, v33, v96
	v_pk_add_f16 v34, v34, v79
	v_pk_fma_f16 v30, v28, s5, v27 op_sel:[0,0,1] op_sel_hi:[1,0,0] neg_lo:[1,0,0] neg_hi:[1,0,0]
	v_pk_fma_f16 v27, v28, s5, v27 op_sel:[0,0,1] op_sel_hi:[1,0,0]
	v_add_f16_e32 v90, v90, v97
	v_add_f16_e32 v82, v82, v85
	v_fma_f16 v85, v32, s18, v132
	v_add_f16_e32 v33, v72, v33
	v_fma_f16 v72, v92, s4, -v102
	v_pk_add_f16 v31, v31, v34
	v_pk_add_f16 v19, v27, v19
	v_pk_mul_f16 v27, v76, s0 op_sel_hi:[1,0]
	v_add_f16_e32 v85, v85, v90
	v_add_f16_e32 v33, v74, v33
	v_add_f16_e32 v70, v72, v70
	v_fma_f16 v72, v76, s16, v125
	v_pk_add_f16 v30, v30, v31
	v_pk_mul_f16 v31, v25, s29
	v_mul_f16_e32 v28, 0xb94e, v25
	v_pk_fma_f16 v32, v25, s17, v27 op_sel:[0,0,1] op_sel_hi:[1,0,0] neg_lo:[1,0,0] neg_hi:[1,0,0]
	v_pk_fma_f16 v25, v25, s17, v27 op_sel:[0,0,1] op_sel_hi:[1,0,0]
	v_add_f16_e32 v83, v83, v85
	v_add_f16_e32 v33, v75, v33
	;; [unrolled: 1-line block ×3, first 2 shown]
	v_fma_f16 v74, v76, s1, v127
	v_fma_f16 v75, v92, s1, -v128
	v_fma_f16 v78, v76, s14, v136
	v_pk_add_f16 v30, v32, v30
	v_pk_add_f16 v19, v25, v19
	v_add_f16_e32 v74, v74, v80
	v_add_f16_e32 v75, v75, v81
	;; [unrolled: 1-line block ×3, first 2 shown]
	v_alignbit_b32 v25, v30, v19, 16
	v_alignbit_b32 v19, v19, v30, 16
	ds_write2_b32 v54, v19, v25 offset0:6 offset1:7
	v_pack_b32_f16 v19, v74, v75
	v_pack_b32_f16 v25, v78, v77
	ds_write2_b32 v54, v25, v19 offset0:8 offset1:9
	v_pack_b32_f16 v19, v84, v26
	v_bfi_b32 v25, s25, v82, v31
	v_pk_add_f16 v19, v19, v25
	v_bfi_b32 v25, s25, v28, v68
	v_pk_add_f16 v25, v126, v25 neg_lo:[0,1] neg_hi:[0,1]
	v_pk_add_f16 v26, v29, v68
	v_bfi_b32 v25, s25, v25, v26
	v_pk_add_f16 v19, v25, v19
	v_fma_f16 v59, v163, s14, v63
	v_fma_f16 v63, v163, s14, -v63
	v_add_f16_e32 v33, v93, v33
	v_alignbit_b32 v25, v70, v19, 16
	v_pack_b32_f16 v19, v72, v19
	v_add_f16_e32 v59, v59, v139
	v_add_f16_e32 v63, v63, v138
	v_pk_add_f16 v65, v65, v154
	v_add_f16_e32 v20, v110, v152
	ds_write2_b32 v54, v19, v25 offset0:10 offset1:11
	v_pack_b32_f16 v19, v67, v33
	ds_write_b32 v54, v19 offset:48
	s_and_saveexec_b64 s[0:1], vcc
	s_cbranch_execz .LBB0_7
; %bb.6:
	v_pk_add_f16 v0, v1, v0
	v_pk_add_f16 v0, v21, v0
	v_pk_add_f16 v0, v22, v0
	v_pk_add_f16 v0, v4, v0
	v_pk_add_f16 v0, v5, v0
	v_pk_add_f16 v0, v2, v0
	v_pk_add_f16 v0, v3, v0
	v_pk_add_f16 v0, v6, v0
	v_pk_add_f16 v0, v7, v0
	v_pk_add_f16 v0, v23, v0
	v_pk_add_f16 v0, v24, v0
	v_pk_add_f16 v0, v66, v0
	v_perm_b32 v1, v55, v20, s20
	ds_write2_b32 v37, v0, v1 offset0:169 offset1:170
	v_perm_b32 v0, v57, v10, s20
	v_perm_b32 v1, v56, v9, s20
	ds_write2_b32 v37, v1, v0 offset0:171 offset1:172
	v_perm_b32 v0, v59, v12, s20
	;; [unrolled: 3-line block ×3, first 2 shown]
	v_alignbit_b32 v1, v73, v71, 16
	ds_write2_b32 v37, v0, v1 offset0:175 offset1:176
	v_perm_b32 v0, v64, v16, s20
	v_perm_b32 v1, v63, v15, s20
	ds_write2_b32 v37, v1, v0 offset0:177 offset1:178
	v_perm_b32 v0, v60, v14, s20
	v_perm_b32 v1, v62, v13, s20
	ds_write2_b32 v37, v1, v0 offset0:179 offset1:180
	v_bfi_b32 v0, s25, v61, v65
	ds_write_b32 v37, v0 offset:724
.LBB0_7:
	s_or_b64 exec, exec, s[0:1]
	v_add_u16_e32 v0, 26, v52
	s_movk_i32 s0, 0x4f
	v_mul_lo_u16_sdwa v1, v0, s0 dst_sel:DWORD dst_unused:UNUSED_PAD src0_sel:BYTE_0 src1_sel:DWORD
	v_lshrrev_b16_e32 v1, 10, v1
	v_mul_lo_u16_e32 v1, 13, v1
	v_sub_u16_e32 v0, v0, v1
	v_mov_b32_e32 v1, 2
	v_lshlrev_b32_sdwa v19, v1, v0 dst_sel:DWORD dst_unused:UNUSED_PAD src0_sel:DWORD src1_sel:BYTE_0
	v_add_u16_e32 v0, 39, v52
	v_mul_lo_u16_sdwa v2, v0, s0 dst_sel:DWORD dst_unused:UNUSED_PAD src0_sel:BYTE_0 src1_sel:DWORD
	v_lshrrev_b16_e32 v2, 10, v2
	v_mul_lo_u16_e32 v2, 13, v2
	v_sub_u16_e32 v0, v0, v2
	v_lshlrev_b32_sdwa v28, v1, v0 dst_sel:DWORD dst_unused:UNUSED_PAD src0_sel:DWORD src1_sel:BYTE_0
	v_add_u16_e32 v0, 52, v52
	v_mul_lo_u16_sdwa v2, v0, s0 dst_sel:DWORD dst_unused:UNUSED_PAD src0_sel:BYTE_0 src1_sel:DWORD
	v_lshrrev_b16_e32 v2, 10, v2
	v_mul_lo_u16_e32 v2, 13, v2
	v_sub_u16_e32 v0, v0, v2
	;; [unrolled: 6-line block ×3, first 2 shown]
	v_lshlrev_b32_sdwa v30, v1, v0 dst_sel:DWORD dst_unused:UNUSED_PAD src0_sel:DWORD src1_sel:BYTE_0
	v_add_u16_e32 v0, 0x4e, v52
	v_mul_lo_u16_sdwa v2, v0, s0 dst_sel:DWORD dst_unused:UNUSED_PAD src0_sel:BYTE_0 src1_sel:DWORD
	v_lshrrev_b16_e32 v2, 10, v2
	v_lshlrev_b32_e32 v25, 2, v52
	v_mul_lo_u16_e32 v2, 13, v2
	s_waitcnt lgkmcnt(0)
	; wave barrier
	s_waitcnt lgkmcnt(0)
	global_load_dword v66, v25, s[2:3]
	global_load_dword v70, v28, s[2:3]
	;; [unrolled: 1-line block ×4, first 2 shown]
	v_sub_u16_e32 v0, v0, v2
	v_lshlrev_b32_sdwa v31, v1, v0 dst_sel:DWORD dst_unused:UNUSED_PAD src0_sel:DWORD src1_sel:BYTE_0
	global_load_dword v67, v31, s[2:3]
	global_load_dword v72, v19, s[2:3]
	ds_read2_b32 v[0:1], v39 offset1:13
	ds_read2_b32 v[2:3], v39 offset0:78 offset1:91
	ds_read2_b32 v[4:5], v39 offset0:104 offset1:117
	;; [unrolled: 1-line block ×6, first 2 shown]
	s_waitcnt lgkmcnt(5)
	v_lshrrev_b32_e32 v33, 16, v3
	s_waitcnt lgkmcnt(4)
	v_lshrrev_b32_e32 v74, 16, v4
	v_lshrrev_b32_e32 v32, 16, v0
	v_lshrrev_b32_e32 v76, 16, v5
	v_lshrrev_b32_e32 v34, 16, v1
	s_waitcnt lgkmcnt(2)
	v_lshrrev_b32_e32 v78, 16, v21
	v_lshrrev_b32_e32 v75, 16, v6
	v_lshrrev_b32_e32 v80, 16, v22
	;; [unrolled: 5-line block ×3, first 2 shown]
	s_waitcnt lgkmcnt(0)
	; wave barrier
	v_lshrrev_b32_e32 v81, 16, v24
	v_lshrrev_b32_e32 v83, 16, v2
	s_mov_b32 s4, 0xb9e0
	s_movk_i32 s5, 0x3574
	s_mov_b32 s14, 0xb574
	s_movk_i32 s15, 0x370e
	s_waitcnt vmcnt(5)
	v_mul_f16_sdwa v85, v33, v66 dst_sel:DWORD dst_unused:UNUSED_PAD src0_sel:DWORD src1_sel:WORD_1
	v_mul_f16_sdwa v86, v3, v66 dst_sel:DWORD dst_unused:UNUSED_PAD src0_sel:DWORD src1_sel:WORD_1
	;; [unrolled: 1-line block ×4, first 2 shown]
	v_fma_f16 v3, v3, v66, -v85
	v_fma_f16 v33, v33, v66, v86
	v_fma_f16 v4, v4, v66, -v87
	v_fma_f16 v74, v74, v66, v88
	s_waitcnt vmcnt(0)
	v_mul_f16_sdwa v85, v76, v72 dst_sel:DWORD dst_unused:UNUSED_PAD src0_sel:DWORD src1_sel:WORD_1
	v_mul_f16_sdwa v86, v5, v72 dst_sel:DWORD dst_unused:UNUSED_PAD src0_sel:DWORD src1_sel:WORD_1
	v_sub_f16_e32 v3, v0, v3
	v_sub_f16_e32 v33, v32, v33
	v_mul_f16_sdwa v87, v78, v70 dst_sel:DWORD dst_unused:UNUSED_PAD src0_sel:DWORD src1_sel:WORD_1
	v_mul_f16_sdwa v88, v21, v70 dst_sel:DWORD dst_unused:UNUSED_PAD src0_sel:DWORD src1_sel:WORD_1
	v_fma_f16 v5, v5, v72, -v85
	v_fma_f16 v76, v76, v72, v86
	v_fma_f16 v0, v0, 2.0, -v3
	v_fma_f16 v32, v32, 2.0, -v33
	v_sub_f16_e32 v4, v1, v4
	v_sub_f16_e32 v74, v34, v74
	v_mul_f16_sdwa v89, v80, v69 dst_sel:DWORD dst_unused:UNUSED_PAD src0_sel:DWORD src1_sel:WORD_1
	v_mul_f16_sdwa v90, v22, v69 dst_sel:DWORD dst_unused:UNUSED_PAD src0_sel:DWORD src1_sel:WORD_1
	v_fma_f16 v21, v21, v70, -v87
	v_fma_f16 v78, v78, v70, v88
	v_fma_f16 v1, v1, 2.0, -v4
	v_fma_f16 v34, v34, 2.0, -v74
	v_sub_f16_e32 v5, v6, v5
	v_sub_f16_e32 v76, v75, v76
	v_pack_b32_f16 v0, v0, v32
	v_pack_b32_f16 v3, v3, v33
	v_mul_f16_sdwa v91, v82, v68 dst_sel:DWORD dst_unused:UNUSED_PAD src0_sel:DWORD src1_sel:WORD_1
	v_mul_f16_sdwa v92, v26, v68 dst_sel:DWORD dst_unused:UNUSED_PAD src0_sel:DWORD src1_sel:WORD_1
	v_fma_f16 v22, v22, v69, -v89
	v_fma_f16 v80, v80, v69, v90
	v_fma_f16 v6, v6, 2.0, -v5
	v_fma_f16 v75, v75, 2.0, -v76
	v_sub_f16_e32 v21, v7, v21
	v_sub_f16_e32 v78, v77, v78
	ds_write2_b32 v39, v0, v3 offset1:13
	v_pack_b32_f16 v0, v1, v34
	v_pack_b32_f16 v1, v4, v74
	v_mul_f16_sdwa v93, v84, v67 dst_sel:DWORD dst_unused:UNUSED_PAD src0_sel:DWORD src1_sel:WORD_1
	v_fma_f16 v26, v26, v68, -v91
	v_fma_f16 v82, v82, v68, v92
	v_fma_f16 v7, v7, 2.0, -v21
	v_fma_f16 v77, v77, 2.0, -v78
	v_sub_f16_e32 v22, v23, v22
	v_sub_f16_e32 v80, v79, v80
	ds_write2_b32 v39, v0, v1 offset0:26 offset1:39
	v_add_u32_e32 v74, v37, v19
	v_pack_b32_f16 v0, v6, v75
	v_pack_b32_f16 v1, v5, v76
	v_fma_f16 v85, v27, v67, -v93
	v_mul_f16_sdwa v27, v27, v67 dst_sel:DWORD dst_unused:UNUSED_PAD src0_sel:DWORD src1_sel:WORD_1
	v_fma_f16 v23, v23, 2.0, -v22
	v_fma_f16 v79, v79, 2.0, -v80
	v_sub_f16_e32 v26, v24, v26
	v_sub_f16_e32 v82, v81, v82
	ds_write2_b32 v74, v0, v1 offset0:52 offset1:65
	v_add_u32_e32 v75, v37, v28
	v_pack_b32_f16 v0, v7, v77
	v_pack_b32_f16 v1, v21, v78
	v_fma_f16 v27, v84, v67, v27
	v_fma_f16 v24, v24, 2.0, -v26
	v_fma_f16 v81, v81, 2.0, -v82
	ds_write2_b32 v75, v0, v1 offset0:78 offset1:91
	v_add_u32_e32 v76, v37, v29
	v_pack_b32_f16 v0, v23, v79
	v_pack_b32_f16 v1, v22, v80
	v_sub_f16_e32 v84, v2, v85
	v_sub_f16_e32 v27, v83, v27
	ds_write2_b32 v76, v0, v1 offset0:104 offset1:117
	v_add_u32_e32 v77, v37, v30
	v_pack_b32_f16 v0, v24, v81
	v_pack_b32_f16 v1, v26, v82
	v_fma_f16 v83, v83, 2.0, -v27
	ds_write2_b32 v77, v0, v1 offset0:130 offset1:143
	v_pack_b32_f16 v1, v84, v27
	v_mad_u64_u32 v[26:27], s[0:1], v52, 24, s[2:3]
	v_fma_f16 v2, v2, 2.0, -v84
	v_add_u32_e32 v78, v37, v31
	v_pack_b32_f16 v0, v2, v83
	ds_write2_b32 v78, v0, v1 offset0:156 offset1:169
	s_waitcnt lgkmcnt(0)
	; wave barrier
	s_waitcnt lgkmcnt(0)
	global_load_dwordx4 v[0:3], v[26:27], off offset:52
	global_load_dwordx2 v[21:22], v[26:27], off offset:68
	global_load_dwordx4 v[4:7], v[26:27], off offset:364
	global_load_dwordx2 v[23:24], v[26:27], off offset:380
	ds_read2_b32 v[26:27], v39 offset0:26 offset1:39
	ds_read2_b32 v[28:29], v39 offset1:13
	ds_read2_b32 v[30:31], v39 offset0:52 offset1:65
	ds_read2_b32 v[32:33], v39 offset0:78 offset1:91
	;; [unrolled: 1-line block ×5, first 2 shown]
	s_waitcnt lgkmcnt(4)
	v_lshrrev_b32_e32 v34, 16, v30
	s_waitcnt lgkmcnt(3)
	v_lshrrev_b32_e32 v85, 16, v32
	v_lshrrev_b32_e32 v19, 16, v26
	s_waitcnt lgkmcnt(2)
	v_lshrrev_b32_e32 v86, 16, v79
	s_waitcnt lgkmcnt(1)
	;; [unrolled: 2-line block ×3, first 2 shown]
	v_lshrrev_b32_e32 v88, 16, v83
	v_lshrrev_b32_e32 v89, 16, v27
	;; [unrolled: 1-line block ×7, first 2 shown]
	s_movk_i32 s0, 0x2b26
	s_movk_i32 s1, 0x3b00
	s_mov_b32 s2, 0xbcab
	s_movk_i32 s3, 0x39e0
	s_waitcnt vmcnt(3)
	v_mul_f16_sdwa v95, v19, v0 dst_sel:DWORD dst_unused:UNUSED_PAD src0_sel:DWORD src1_sel:WORD_1
	v_fma_f16 v95, v26, v0, -v95
	v_mul_f16_sdwa v26, v26, v0 dst_sel:DWORD dst_unused:UNUSED_PAD src0_sel:DWORD src1_sel:WORD_1
	v_fma_f16 v19, v19, v0, v26
	v_mul_f16_sdwa v26, v34, v1 dst_sel:DWORD dst_unused:UNUSED_PAD src0_sel:DWORD src1_sel:WORD_1
	v_fma_f16 v26, v30, v1, -v26
	v_mul_f16_sdwa v30, v30, v1 dst_sel:DWORD dst_unused:UNUSED_PAD src0_sel:DWORD src1_sel:WORD_1
	v_fma_f16 v30, v34, v1, v30
	;; [unrolled: 4-line block ×4, first 2 shown]
	s_waitcnt vmcnt(2)
	v_mul_f16_sdwa v86, v87, v21 dst_sel:DWORD dst_unused:UNUSED_PAD src0_sel:DWORD src1_sel:WORD_1
	v_fma_f16 v86, v81, v21, -v86
	v_mul_f16_sdwa v81, v81, v21 dst_sel:DWORD dst_unused:UNUSED_PAD src0_sel:DWORD src1_sel:WORD_1
	v_fma_f16 v81, v87, v21, v81
	v_mul_f16_sdwa v87, v88, v22 dst_sel:DWORD dst_unused:UNUSED_PAD src0_sel:DWORD src1_sel:WORD_1
	v_fma_f16 v87, v83, v22, -v87
	v_mul_f16_sdwa v83, v83, v22 dst_sel:DWORD dst_unused:UNUSED_PAD src0_sel:DWORD src1_sel:WORD_1
	v_fma_f16 v83, v88, v22, v83
	s_waitcnt vmcnt(1)
	v_mul_f16_sdwa v88, v89, v4 dst_sel:DWORD dst_unused:UNUSED_PAD src0_sel:DWORD src1_sel:WORD_1
	v_fma_f16 v88, v27, v4, -v88
	v_mul_f16_sdwa v27, v27, v4 dst_sel:DWORD dst_unused:UNUSED_PAD src0_sel:DWORD src1_sel:WORD_1
	v_fma_f16 v27, v89, v4, v27
	v_mul_f16_sdwa v89, v90, v5 dst_sel:DWORD dst_unused:UNUSED_PAD src0_sel:DWORD src1_sel:WORD_1
	v_fma_f16 v89, v31, v5, -v89
	v_mul_f16_sdwa v31, v31, v5 dst_sel:DWORD dst_unused:UNUSED_PAD src0_sel:DWORD src1_sel:WORD_1
	v_fma_f16 v31, v90, v5, v31
	;; [unrolled: 4-line block ×4, first 2 shown]
	s_waitcnt vmcnt(0)
	v_mul_f16_sdwa v92, v93, v23 dst_sel:DWORD dst_unused:UNUSED_PAD src0_sel:DWORD src1_sel:WORD_1
	v_fma_f16 v92, v82, v23, -v92
	v_mul_f16_sdwa v82, v82, v23 dst_sel:DWORD dst_unused:UNUSED_PAD src0_sel:DWORD src1_sel:WORD_1
	v_fma_f16 v82, v93, v23, v82
	v_mul_f16_sdwa v93, v94, v24 dst_sel:DWORD dst_unused:UNUSED_PAD src0_sel:DWORD src1_sel:WORD_1
	v_fma_f16 v93, v84, v24, -v93
	v_mul_f16_sdwa v84, v84, v24 dst_sel:DWORD dst_unused:UNUSED_PAD src0_sel:DWORD src1_sel:WORD_1
	v_fma_f16 v84, v94, v24, v84
	v_add_f16_e32 v94, v95, v87
	v_add_f16_e32 v96, v19, v83
	v_sub_f16_e32 v87, v95, v87
	v_sub_f16_e32 v19, v19, v83
	v_add_f16_e32 v83, v26, v86
	v_add_f16_e32 v95, v30, v81
	v_sub_f16_e32 v26, v26, v86
	v_sub_f16_e32 v30, v30, v81
	;; [unrolled: 4-line block ×4, first 2 shown]
	v_sub_f16_e32 v94, v94, v81
	v_sub_f16_e32 v96, v96, v86
	;; [unrolled: 1-line block ×4, first 2 shown]
	v_add_f16_e32 v99, v34, v26
	v_add_f16_e32 v100, v32, v30
	v_sub_f16_e32 v101, v34, v26
	v_sub_f16_e32 v102, v32, v30
	;; [unrolled: 1-line block ×4, first 2 shown]
	v_add_f16_e32 v79, v81, v79
	v_add_f16_e32 v81, v86, v85
	v_sub_f16_e32 v34, v87, v34
	v_sub_f16_e32 v32, v19, v32
	v_add_f16_e32 v85, v99, v87
	v_add_f16_e32 v19, v100, v19
	;; [unrolled: 1-line block ×3, first 2 shown]
	v_add_f16_sdwa v28, v28, v81 dst_sel:DWORD dst_unused:UNUSED_PAD src0_sel:WORD_1 src1_sel:DWORD
	v_mul_f16_e32 v87, 0x3a52, v94
	v_mul_f16_e32 v94, 0x3a52, v96
	;; [unrolled: 1-line block ×8, first 2 shown]
	v_fma_f16 v79, v79, s2, v86
	v_fma_f16 v81, v81, s2, v28
	;; [unrolled: 1-line block ×4, first 2 shown]
	v_fma_f16 v96, v97, s3, -v96
	v_fma_f16 v99, v98, s3, -v99
	;; [unrolled: 1-line block ×4, first 2 shown]
	v_fma_f16 v97, v34, s5, v100
	v_fma_f16 v98, v32, s5, v101
	v_fma_f16 v30, v30, s1, -v101
	v_fma_f16 v34, v34, s14, -v102
	;; [unrolled: 1-line block ×4, first 2 shown]
	v_add_f16_e32 v83, v83, v79
	v_add_f16_e32 v95, v95, v81
	;; [unrolled: 1-line block ×6, first 2 shown]
	v_fma_f16 v87, v85, s15, v97
	v_fma_f16 v94, v19, s15, v98
	;; [unrolled: 1-line block ×6, first 2 shown]
	v_add_f16_e32 v32, v94, v83
	v_sub_f16_e32 v85, v95, v87
	v_add_f16_e32 v97, v19, v79
	v_sub_f16_e32 v98, v81, v34
	v_sub_f16_e32 v100, v96, v30
	v_add_f16_e32 v30, v30, v96
	v_sub_f16_e32 v96, v79, v19
	v_add_f16_e32 v34, v34, v81
	;; [unrolled: 2-line block ×3, first 2 shown]
	v_add_f16_e32 v19, v88, v93
	v_add_f16_e32 v79, v27, v84
	v_sub_f16_e32 v87, v88, v93
	v_sub_f16_e32 v27, v27, v84
	v_add_f16_e32 v84, v89, v92
	v_add_f16_e32 v88, v31, v82
	v_sub_f16_e32 v89, v89, v92
	v_sub_f16_e32 v31, v31, v82
	;; [unrolled: 4-line block ×3, first 2 shown]
	v_add_f16_e32 v80, v84, v19
	v_add_f16_e32 v91, v88, v79
	;; [unrolled: 1-line block ×3, first 2 shown]
	v_sub_f16_e32 v26, v99, v26
	v_sub_f16_e32 v93, v84, v19
	;; [unrolled: 1-line block ×6, first 2 shown]
	v_add_f16_e32 v95, v90, v89
	v_add_f16_e32 v99, v33, v31
	v_sub_f16_e32 v102, v90, v89
	v_sub_f16_e32 v103, v33, v31
	;; [unrolled: 1-line block ×3, first 2 shown]
	v_add_f16_e32 v80, v82, v80
	v_add_f16_e32 v82, v92, v91
	v_sub_f16_e32 v88, v92, v88
	v_sub_f16_e32 v90, v87, v90
	;; [unrolled: 1-line block ×4, first 2 shown]
	v_add_f16_e32 v27, v99, v27
	v_add_f16_e32 v91, v29, v80
	v_add_f16_sdwa v29, v29, v82 dst_sel:DWORD dst_unused:UNUSED_PAD src0_sel:WORD_1 src1_sel:DWORD
	v_mul_f16_e32 v19, 0x3a52, v19
	v_mul_f16_e32 v79, 0x3a52, v79
	;; [unrolled: 1-line block ×6, first 2 shown]
	v_add_f16_e32 v87, v95, v87
	v_mul_f16_e32 v95, 0x2b26, v88
	v_fma_f16 v80, v80, s2, v91
	v_fma_f16 v82, v82, s2, v29
	;; [unrolled: 1-line block ×4, first 2 shown]
	v_fma_f16 v92, v93, s3, -v92
	v_fma_f16 v19, v93, s4, -v19
	;; [unrolled: 1-line block ×3, first 2 shown]
	v_fma_f16 v93, v90, s5, v99
	v_fma_f16 v89, v89, s1, -v99
	v_fma_f16 v90, v90, s14, -v103
	v_fma_f16 v95, v94, s3, -v95
	v_fma_f16 v94, v33, s5, v102
	v_add_f16_e32 v84, v84, v80
	v_add_f16_e32 v88, v88, v82
	;; [unrolled: 1-line block ×5, first 2 shown]
	v_fma_f16 v80, v87, s15, v93
	v_fma_f16 v89, v87, s15, v89
	;; [unrolled: 1-line block ×3, first 2 shown]
	v_mul_f16_e32 v104, 0x3b00, v31
	v_add_f16_e32 v95, v95, v82
	v_fma_f16 v82, v27, s15, v94
	v_sub_f16_e32 v90, v88, v80
	v_sub_f16_e32 v94, v79, v87
	v_add_f16_e32 v87, v87, v79
	v_add_f16_e32 v79, v80, v88
	v_pack_b32_f16 v32, v32, v85
	v_pack_b32_f16 v80, v97, v98
	v_fma_f16 v31, v31, s1, -v102
	v_fma_f16 v33, v33, s14, -v104
	ds_write2_b32 v39, v32, v80 offset0:26 offset1:52
	v_pack_b32_f16 v32, v100, v101
	v_pack_b32_f16 v26, v30, v26
	v_fma_f16 v31, v27, s15, v31
	v_fma_f16 v27, v27, s15, v33
	ds_write2_b32 v39, v32, v26 offset0:78 offset1:104
	v_pack_b32_f16 v26, v96, v34
	v_pack_b32_f16 v30, v81, v83
	v_add_f16_e32 v33, v82, v84
	v_add_f16_e32 v93, v27, v19
	v_pack_b32_f16 v28, v86, v28
	ds_write2_b32 v39, v26, v30 offset0:130 offset1:156
	v_pack_b32_f16 v26, v91, v29
	v_sub_f16_e32 v99, v92, v31
	v_add_f16_e32 v102, v89, v95
	v_add_f16_e32 v31, v31, v92
	v_sub_f16_e32 v89, v95, v89
	v_lshl_add_u32 v80, v36, 2, v35
	ds_write2_b32 v39, v28, v26 offset1:13
	v_pack_b32_f16 v26, v33, v90
	v_pack_b32_f16 v28, v93, v94
	v_sub_f16_e32 v27, v19, v27
	v_sub_f16_e32 v19, v84, v82
	ds_write2_b32 v80, v26, v28 offset0:39 offset1:65
	v_pack_b32_f16 v26, v99, v102
	v_pack_b32_f16 v28, v31, v89
	ds_write2_b32 v80, v26, v28 offset0:91 offset1:117
	v_pack_b32_f16 v26, v27, v87
	v_pack_b32_f16 v27, v19, v79
	ds_write2_b32 v80, v26, v27 offset0:143 offset1:169
	s_waitcnt lgkmcnt(0)
	; wave barrier
	s_waitcnt lgkmcnt(0)
	global_load_dword v26, v[17:18], off offset:728
	s_add_u32 s0, s6, 0x2d8
	s_addc_u32 s1, s7, 0
	global_load_dword v27, v25, s[0:1] offset:56
	global_load_dword v28, v25, s[0:1] offset:112
	;; [unrolled: 1-line block ×10, first 2 shown]
	ds_read2_b32 v[17:18], v39 offset1:14
	global_load_dword v81, v25, s[0:1] offset:616
	s_waitcnt lgkmcnt(0)
	v_lshrrev_b32_e32 v82, 16, v17
	s_waitcnt vmcnt(11)
	v_mul_f16_sdwa v83, v82, v26 dst_sel:DWORD dst_unused:UNUSED_PAD src0_sel:DWORD src1_sel:WORD_1
	v_fma_f16 v83, v17, v26, -v83
	v_mul_f16_sdwa v17, v17, v26 dst_sel:DWORD dst_unused:UNUSED_PAD src0_sel:DWORD src1_sel:WORD_1
	v_fma_f16 v17, v82, v26, v17
	global_load_dword v82, v25, s[0:1] offset:672
	v_pack_b32_f16 v17, v83, v17
	v_lshrrev_b32_e32 v83, 16, v18
	s_waitcnt vmcnt(11)
	v_mul_f16_sdwa v25, v83, v27 dst_sel:DWORD dst_unused:UNUSED_PAD src0_sel:DWORD src1_sel:WORD_1
	v_fma_f16 v84, v18, v27, -v25
	ds_read2_b32 v[25:26], v39 offset0:28 offset1:42
	v_mul_f16_sdwa v18, v18, v27 dst_sel:DWORD dst_unused:UNUSED_PAD src0_sel:DWORD src1_sel:WORD_1
	v_fma_f16 v18, v83, v27, v18
	v_pack_b32_f16 v18, v84, v18
	ds_write2_b32 v39, v17, v18 offset1:14
	s_waitcnt lgkmcnt(1)
	v_lshrrev_b32_e32 v17, 16, v25
	s_waitcnt vmcnt(10)
	v_mul_f16_sdwa v18, v17, v28 dst_sel:DWORD dst_unused:UNUSED_PAD src0_sel:DWORD src1_sel:WORD_1
	v_fma_f16 v18, v25, v28, -v18
	v_mul_f16_sdwa v25, v25, v28 dst_sel:DWORD dst_unused:UNUSED_PAD src0_sel:DWORD src1_sel:WORD_1
	v_fma_f16 v17, v17, v28, v25
	v_lshrrev_b32_e32 v27, 16, v26
	v_pack_b32_f16 v25, v18, v17
	s_waitcnt vmcnt(9)
	v_mul_f16_sdwa v17, v27, v29 dst_sel:DWORD dst_unused:UNUSED_PAD src0_sel:DWORD src1_sel:WORD_1
	v_fma_f16 v28, v26, v29, -v17
	ds_read2_b32 v[17:18], v39 offset0:56 offset1:70
	v_mul_f16_sdwa v26, v26, v29 dst_sel:DWORD dst_unused:UNUSED_PAD src0_sel:DWORD src1_sel:WORD_1
	v_fma_f16 v26, v27, v29, v26
	v_pack_b32_f16 v26, v28, v26
	ds_write2_b32 v39, v25, v26 offset0:28 offset1:42
	s_waitcnt lgkmcnt(1)
	v_lshrrev_b32_e32 v25, 16, v17
	s_waitcnt vmcnt(8)
	v_mul_f16_sdwa v26, v25, v30 dst_sel:DWORD dst_unused:UNUSED_PAD src0_sel:DWORD src1_sel:WORD_1
	v_fma_f16 v26, v17, v30, -v26
	v_mul_f16_sdwa v17, v17, v30 dst_sel:DWORD dst_unused:UNUSED_PAD src0_sel:DWORD src1_sel:WORD_1
	v_lshrrev_b32_e32 v27, 16, v18
	v_fma_f16 v17, v25, v30, v17
	s_waitcnt vmcnt(7)
	v_mul_f16_sdwa v25, v27, v31 dst_sel:DWORD dst_unused:UNUSED_PAD src0_sel:DWORD src1_sel:WORD_1
	v_pack_b32_f16 v17, v26, v17
	v_fma_f16 v28, v18, v31, -v25
	ds_read2_b32 v[25:26], v39 offset0:84 offset1:98
	v_mul_f16_sdwa v18, v18, v31 dst_sel:DWORD dst_unused:UNUSED_PAD src0_sel:DWORD src1_sel:WORD_1
	v_fma_f16 v18, v27, v31, v18
	v_pack_b32_f16 v18, v28, v18
	ds_write2_b32 v39, v17, v18 offset0:56 offset1:70
	s_waitcnt lgkmcnt(1)
	v_lshrrev_b32_e32 v17, 16, v25
	s_waitcnt vmcnt(6)
	v_mul_f16_sdwa v18, v17, v32 dst_sel:DWORD dst_unused:UNUSED_PAD src0_sel:DWORD src1_sel:WORD_1
	v_fma_f16 v18, v25, v32, -v18
	v_mul_f16_sdwa v25, v25, v32 dst_sel:DWORD dst_unused:UNUSED_PAD src0_sel:DWORD src1_sel:WORD_1
	v_fma_f16 v17, v17, v32, v25
	v_lshrrev_b32_e32 v27, 16, v26
	v_pack_b32_f16 v25, v18, v17
	s_waitcnt vmcnt(5)
	v_mul_f16_sdwa v17, v27, v33 dst_sel:DWORD dst_unused:UNUSED_PAD src0_sel:DWORD src1_sel:WORD_1
	v_fma_f16 v28, v26, v33, -v17
	ds_read2_b32 v[17:18], v39 offset0:112 offset1:126
	v_mul_f16_sdwa v26, v26, v33 dst_sel:DWORD dst_unused:UNUSED_PAD src0_sel:DWORD src1_sel:WORD_1
	v_fma_f16 v26, v27, v33, v26
	v_pack_b32_f16 v26, v28, v26
	ds_write2_b32 v39, v25, v26 offset0:84 offset1:98
	s_waitcnt lgkmcnt(1)
	v_lshrrev_b32_e32 v25, 16, v17
	s_waitcnt vmcnt(4)
	v_mul_f16_sdwa v26, v25, v34 dst_sel:DWORD dst_unused:UNUSED_PAD src0_sel:DWORD src1_sel:WORD_1
	v_fma_f16 v26, v17, v34, -v26
	v_mul_f16_sdwa v17, v17, v34 dst_sel:DWORD dst_unused:UNUSED_PAD src0_sel:DWORD src1_sel:WORD_1
	v_lshrrev_b32_e32 v27, 16, v18
	v_fma_f16 v17, v25, v34, v17
	s_waitcnt vmcnt(3)
	v_mul_f16_sdwa v25, v27, v35 dst_sel:DWORD dst_unused:UNUSED_PAD src0_sel:DWORD src1_sel:WORD_1
	v_pack_b32_f16 v17, v26, v17
	v_fma_f16 v28, v18, v35, -v25
	ds_read2_b32 v[25:26], v39 offset0:140 offset1:154
	v_mul_f16_sdwa v18, v18, v35 dst_sel:DWORD dst_unused:UNUSED_PAD src0_sel:DWORD src1_sel:WORD_1
	v_fma_f16 v18, v27, v35, v18
	v_pack_b32_f16 v18, v28, v18
	ds_write2_b32 v39, v17, v18 offset0:112 offset1:126
	s_waitcnt lgkmcnt(1)
	v_lshrrev_b32_e32 v17, 16, v25
	s_waitcnt vmcnt(2)
	v_mul_f16_sdwa v18, v17, v36 dst_sel:DWORD dst_unused:UNUSED_PAD src0_sel:DWORD src1_sel:WORD_1
	v_fma_f16 v18, v25, v36, -v18
	v_mul_f16_sdwa v25, v25, v36 dst_sel:DWORD dst_unused:UNUSED_PAD src0_sel:DWORD src1_sel:WORD_1
	v_fma_f16 v17, v17, v36, v25
	v_pack_b32_f16 v17, v18, v17
	v_lshrrev_b32_e32 v18, 16, v26
	ds_read_b32 v27, v39 offset:672
	s_waitcnt vmcnt(1)
	v_mul_f16_sdwa v25, v18, v81 dst_sel:DWORD dst_unused:UNUSED_PAD src0_sel:DWORD src1_sel:WORD_1
	v_fma_f16 v25, v26, v81, -v25
	v_mul_f16_sdwa v26, v26, v81 dst_sel:DWORD dst_unused:UNUSED_PAD src0_sel:DWORD src1_sel:WORD_1
	v_fma_f16 v18, v18, v81, v26
	v_pack_b32_f16 v18, v25, v18
	ds_write2_b32 v39, v17, v18 offset0:140 offset1:154
	s_waitcnt lgkmcnt(1)
	v_lshrrev_b32_e32 v17, 16, v27
	s_waitcnt vmcnt(0)
	v_mul_f16_sdwa v18, v17, v82 dst_sel:DWORD dst_unused:UNUSED_PAD src0_sel:DWORD src1_sel:WORD_1
	v_mul_f16_sdwa v25, v27, v82 dst_sel:DWORD dst_unused:UNUSED_PAD src0_sel:DWORD src1_sel:WORD_1
	v_fma_f16 v18, v27, v82, -v18
	v_fma_f16 v17, v17, v82, v25
	v_pack_b32_f16 v17, v18, v17
	ds_write_b32 v39, v17 offset:672
	s_and_saveexec_b64 s[0:1], vcc
	s_cbranch_execz .LBB0_9
; %bb.8:
	v_mov_b32_e32 v35, 0
	global_load_dword v36, v35, s[6:7] offset:780
	global_load_dword v81, v35, s[6:7] offset:836
	global_load_dword v82, v35, s[6:7] offset:892
	global_load_dword v83, v35, s[6:7] offset:948
	global_load_dword v84, v35, s[6:7] offset:1004
	global_load_dword v85, v35, s[6:7] offset:1060
	global_load_dword v86, v35, s[6:7] offset:1116
	global_load_dword v87, v35, s[6:7] offset:1172
	global_load_dword v88, v35, s[6:7] offset:1228
	global_load_dword v89, v35, s[6:7] offset:1284
	global_load_dword v90, v35, s[6:7] offset:1340
	global_load_dword v91, v35, s[6:7] offset:1396
	ds_read2_b32 v[17:18], v37 offset0:13 offset1:27
	ds_read2_b32 v[25:26], v37 offset0:41 offset1:55
	;; [unrolled: 1-line block ×6, first 2 shown]
	global_load_dword v35, v35, s[6:7] offset:1452
	s_waitcnt lgkmcnt(5)
	v_lshrrev_b32_e32 v92, 16, v17
	v_lshrrev_b32_e32 v93, 16, v18
	s_waitcnt lgkmcnt(4)
	v_lshrrev_b32_e32 v94, 16, v25
	v_lshrrev_b32_e32 v95, 16, v26
	;; [unrolled: 3-line block ×5, first 2 shown]
	s_waitcnt vmcnt(12)
	v_mul_f16_sdwa v102, v92, v36 dst_sel:DWORD dst_unused:UNUSED_PAD src0_sel:DWORD src1_sel:WORD_1
	v_mul_f16_sdwa v103, v17, v36 dst_sel:DWORD dst_unused:UNUSED_PAD src0_sel:DWORD src1_sel:WORD_1
	s_waitcnt vmcnt(11)
	v_mul_f16_sdwa v104, v93, v81 dst_sel:DWORD dst_unused:UNUSED_PAD src0_sel:DWORD src1_sel:WORD_1
	v_mul_f16_sdwa v105, v18, v81 dst_sel:DWORD dst_unused:UNUSED_PAD src0_sel:DWORD src1_sel:WORD_1
	;; [unrolled: 3-line block ×10, first 2 shown]
	v_fma_f16 v17, v17, v36, -v102
	v_fma_f16 v36, v92, v36, v103
	v_fma_f16 v18, v18, v81, -v104
	v_fma_f16 v81, v93, v81, v105
	;; [unrolled: 2-line block ×10, first 2 shown]
	v_pack_b32_f16 v17, v17, v36
	v_pack_b32_f16 v18, v18, v81
	;; [unrolled: 1-line block ×10, first 2 shown]
	ds_write2_b32 v37, v17, v18 offset0:13 offset1:27
	ds_write2_b32 v37, v25, v26 offset0:41 offset1:55
	;; [unrolled: 1-line block ×5, first 2 shown]
	s_waitcnt lgkmcnt(5)
	v_lshrrev_b32_e32 v17, 16, v33
	s_waitcnt vmcnt(2)
	v_mul_f16_sdwa v18, v17, v90 dst_sel:DWORD dst_unused:UNUSED_PAD src0_sel:DWORD src1_sel:WORD_1
	v_mul_f16_sdwa v25, v33, v90 dst_sel:DWORD dst_unused:UNUSED_PAD src0_sel:DWORD src1_sel:WORD_1
	v_fma_f16 v18, v33, v90, -v18
	v_fma_f16 v17, v17, v90, v25
	ds_read_b32 v26, v37 offset:724
	v_pack_b32_f16 v17, v18, v17
	v_lshrrev_b32_e32 v18, 16, v34
	s_waitcnt vmcnt(1)
	v_mul_f16_sdwa v25, v18, v91 dst_sel:DWORD dst_unused:UNUSED_PAD src0_sel:DWORD src1_sel:WORD_1
	v_mul_f16_sdwa v27, v34, v91 dst_sel:DWORD dst_unused:UNUSED_PAD src0_sel:DWORD src1_sel:WORD_1
	v_fma_f16 v25, v34, v91, -v25
	v_fma_f16 v18, v18, v91, v27
	v_pack_b32_f16 v18, v25, v18
	ds_write2_b32 v37, v17, v18 offset0:153 offset1:167
	s_waitcnt lgkmcnt(1)
	v_lshrrev_b32_e32 v17, 16, v26
	s_waitcnt vmcnt(0)
	v_mul_f16_sdwa v18, v17, v35 dst_sel:DWORD dst_unused:UNUSED_PAD src0_sel:DWORD src1_sel:WORD_1
	v_mul_f16_sdwa v25, v26, v35 dst_sel:DWORD dst_unused:UNUSED_PAD src0_sel:DWORD src1_sel:WORD_1
	v_fma_f16 v18, v26, v35, -v18
	v_fma_f16 v17, v17, v35, v25
	v_pack_b32_f16 v17, v18, v17
	ds_write_b32 v37, v17 offset:724
.LBB0_9:
	s_or_b64 exec, exec, s[0:1]
	s_waitcnt lgkmcnt(0)
	; wave barrier
	s_waitcnt lgkmcnt(0)
	ds_read2_b32 v[25:26], v39 offset1:14
	ds_read2_b32 v[33:34], v39 offset0:28 offset1:42
	ds_read2_b32 v[29:30], v39 offset0:56 offset1:70
	ds_read2_b32 v[27:28], v39 offset0:84 offset1:98
	ds_read2_b32 v[31:32], v39 offset0:112 offset1:126
	ds_read2_b32 v[35:36], v39 offset0:140 offset1:154
	ds_read_b32 v81, v39 offset:672
	v_lshrrev_b32_e32 v18, 16, v71
	s_and_saveexec_b64 s[0:1], vcc
	s_cbranch_execz .LBB0_11
; %bb.10:
	ds_read2_b32 v[19:20], v37 offset0:13 offset1:27
	ds_read2_b32 v[9:10], v37 offset0:41 offset1:55
	;; [unrolled: 1-line block ×6, first 2 shown]
	ds_read_b32 v61, v37 offset:724
	s_mov_b32 s2, 0xffff
	s_waitcnt lgkmcnt(6)
	v_lshrrev_b32_e32 v79, 16, v19
	v_lshrrev_b32_e32 v55, 16, v20
	s_waitcnt lgkmcnt(5)
	v_lshrrev_b32_e32 v56, 16, v9
	v_lshrrev_b32_e32 v57, 16, v10
	;; [unrolled: 3-line block ×6, first 2 shown]
	s_waitcnt lgkmcnt(0)
	v_bfi_b32 v65, s2, v17, v61
.LBB0_11:
	s_or_b64 exec, exec, s[0:1]
	v_add_u32_e32 v17, 52, v80
	s_waitcnt lgkmcnt(6)
	v_pk_add_f16 v80, v25, v26
	s_waitcnt lgkmcnt(5)
	v_pk_add_f16 v80, v80, v33
	v_pk_add_f16 v80, v80, v34
	s_waitcnt lgkmcnt(4)
	v_pk_add_f16 v80, v80, v29
	;; [unrolled: 3-line block ×6, first 2 shown]
	v_pk_add_f16 v26, v26, v81 neg_lo:[0,1] neg_hi:[0,1]
	s_mov_b32 s4, 0xb770
	v_pk_add_f16 v80, v80, v81
	v_pk_mul_f16 v81, v26, s4 op_sel_hi:[1,0]
	s_movk_i32 s2, 0x3b15
	s_mov_b32 s5, 0xba95
	v_pk_add_f16 v101, v36, v33
	v_pk_add_f16 v33, v33, v36 neg_lo:[0,1] neg_hi:[0,1]
	v_pk_fma_f16 v83, v82, s2, v81 op_sel:[0,0,1] op_sel_hi:[1,0,0]
	v_pk_fma_f16 v81, v82, s2, v81 op_sel:[0,0,1] op_sel_hi:[1,0,0] neg_lo:[0,0,1] neg_hi:[0,0,1]
	s_mov_b32 s0, 0xffff
	s_movk_i32 s3, 0x388b
	v_pk_mul_f16 v36, v33, s5 op_sel_hi:[1,0]
	v_bfi_b32 v84, s0, v83, v81
	v_pk_fma_f16 v102, v101, s3, v36 op_sel:[0,0,1] op_sel_hi:[1,0,0]
	v_pk_fma_f16 v36, v101, s3, v36 op_sel:[0,0,1] op_sel_hi:[1,0,0] neg_lo:[0,0,1] neg_hi:[0,0,1]
	v_pk_add_f16 v84, v25, v84
	v_mul_f16_sdwa v85, v26, s5 dst_sel:DWORD dst_unused:UNUSED_PAD src0_sel:WORD_1 src1_sel:DWORD
	s_mov_b32 s17, 0xbb7b
	v_bfi_b32 v103, s0, v102, v36
	v_fma_f16 v86, v82, s3, v85
	s_mov_b32 s16, 0xb5ac
	v_pk_add_f16 v84, v103, v84
	v_mul_f16_sdwa v103, v33, s17 dst_sel:DWORD dst_unused:UNUSED_PAD src0_sel:WORD_1 src1_sel:DWORD
	v_add_f16_e32 v86, v25, v86
	v_mul_f16_sdwa v87, v82, s3 dst_sel:DWORD dst_unused:UNUSED_PAD src0_sel:WORD_1 src1_sel:DWORD
	s_movk_i32 s24, 0x3a95
	v_fma_f16 v85, v82, s3, -v85
	v_fma_f16 v104, v101, s16, v103
	v_fma_f16 v88, v26, s24, v87
	v_add_f16_e32 v85, v25, v85
	v_fma_f16 v87, v26, s5, v87
	s_mov_b32 s15, 0xbbf1
	v_add_f16_e32 v86, v104, v86
	v_mul_f16_sdwa v104, v101, s16 dst_sel:DWORD dst_unused:UNUSED_PAD src0_sel:WORD_1 src1_sel:DWORD
	v_fma_f16 v103, v101, s16, -v103
	v_add_f16_sdwa v87, v25, v87 dst_sel:DWORD dst_unused:UNUSED_PAD src0_sel:WORD_1 src1_sel:DWORD
	v_mul_f16_sdwa v89, v26, s15 dst_sel:DWORD dst_unused:UNUSED_PAD src0_sel:WORD_1 src1_sel:DWORD
	s_movk_i32 s14, 0x2fb7
	v_add_f16_e32 v85, v103, v85
	v_fma_f16 v103, v33, s17, v104
	s_mov_b32 s22, 0xb3a8
	v_fma_f16 v90, v82, s14, v89
	s_movk_i32 s25, 0x3b7b
	v_add_f16_e32 v87, v103, v87
	v_mul_f16_sdwa v103, v33, s22 dst_sel:DWORD dst_unused:UNUSED_PAD src0_sel:WORD_1 src1_sel:DWORD
	s_mov_b32 s21, 0xbbc4
	v_add_f16_e32 v90, v25, v90
	v_mul_f16_sdwa v91, v82, s14 dst_sel:DWORD dst_unused:UNUSED_PAD src0_sel:WORD_1 src1_sel:DWORD
	s_movk_i32 s20, 0x3bf1
	v_fma_f16 v89, v82, s14, -v89
	v_fma_f16 v105, v33, s25, v104
	v_fma_f16 v104, v101, s21, v103
	;; [unrolled: 1-line block ×3, first 2 shown]
	v_add_f16_e32 v89, v25, v89
	v_fma_f16 v91, v26, s15, v91
	v_add_f16_e32 v90, v104, v90
	v_mul_f16_sdwa v104, v101, s21 dst_sel:DWORD dst_unused:UNUSED_PAD src0_sel:WORD_1 src1_sel:DWORD
	v_fma_f16 v103, v101, s21, -v103
	v_add_f16_sdwa v91, v25, v91 dst_sel:DWORD dst_unused:UNUSED_PAD src0_sel:WORD_1 src1_sel:DWORD
	v_mul_f16_sdwa v93, v26, s17 dst_sel:DWORD dst_unused:UNUSED_PAD src0_sel:WORD_1 src1_sel:DWORD
	s_movk_i32 s23, 0x394e
	v_add_f16_e32 v89, v103, v89
	v_fma_f16 v103, v33, s22, v104
	v_add_f16_sdwa v88, v25, v88 dst_sel:DWORD dst_unused:UNUSED_PAD src0_sel:WORD_1 src1_sel:DWORD
	v_fma_f16 v94, v82, s16, v93
	s_mov_b32 s18, 0xb9fd
	s_movk_i32 s26, 0x33a8
	v_add_f16_e32 v91, v103, v91
	v_mul_f16_sdwa v103, v33, s23 dst_sel:DWORD dst_unused:UNUSED_PAD src0_sel:WORD_1 src1_sel:DWORD
	v_add_f16_e32 v94, v25, v94
	v_mul_f16_sdwa v95, v82, s16 dst_sel:DWORD dst_unused:UNUSED_PAD src0_sel:WORD_1 src1_sel:DWORD
	v_fma_f16 v93, v82, s16, -v93
	v_add_f16_e32 v88, v105, v88
	v_fma_f16 v105, v33, s26, v104
	v_fma_f16 v104, v101, s18, v103
	v_fma_f16 v96, v26, s25, v95
	v_add_f16_e32 v93, v25, v93
	v_fma_f16 v95, v26, s17, v95
	s_mov_b32 s19, 0xb94e
	v_add_f16_e32 v94, v104, v94
	v_mul_f16_sdwa v104, v101, s18 dst_sel:DWORD dst_unused:UNUSED_PAD src0_sel:WORD_1 src1_sel:DWORD
	v_fma_f16 v103, v101, s18, -v103
	v_add_f16_sdwa v95, v25, v95 dst_sel:DWORD dst_unused:UNUSED_PAD src0_sel:WORD_1 src1_sel:DWORD
	v_mul_f16_sdwa v97, v26, s19 dst_sel:DWORD dst_unused:UNUSED_PAD src0_sel:WORD_1 src1_sel:DWORD
	v_add_f16_e32 v93, v103, v93
	v_fma_f16 v103, v33, s23, v104
	v_add_f16_sdwa v92, v25, v92 dst_sel:DWORD dst_unused:UNUSED_PAD src0_sel:WORD_1 src1_sel:DWORD
	v_fma_f16 v98, v82, s18, v97
	v_add_f16_e32 v95, v103, v95
	v_mul_f16_sdwa v103, v33, s20 dst_sel:DWORD dst_unused:UNUSED_PAD src0_sel:WORD_1 src1_sel:DWORD
	v_add_f16_e32 v98, v25, v98
	v_mul_f16_sdwa v99, v82, s18 dst_sel:DWORD dst_unused:UNUSED_PAD src0_sel:WORD_1 src1_sel:DWORD
	v_fma_f16 v97, v82, s18, -v97
	v_add_f16_e32 v92, v105, v92
	v_fma_f16 v105, v33, s19, v104
	v_fma_f16 v104, v101, s14, v103
	;; [unrolled: 1-line block ×3, first 2 shown]
	v_add_f16_e32 v97, v25, v97
	v_fma_f16 v99, v26, s19, v99
	v_add_f16_e32 v98, v104, v98
	v_mul_f16_sdwa v104, v101, s14 dst_sel:DWORD dst_unused:UNUSED_PAD src0_sel:WORD_1 src1_sel:DWORD
	v_fma_f16 v103, v101, s14, -v103
	v_add_f16_sdwa v99, v25, v99 dst_sel:DWORD dst_unused:UNUSED_PAD src0_sel:WORD_1 src1_sel:DWORD
	v_add_f16_e32 v97, v103, v97
	v_fma_f16 v103, v33, s20, v104
	v_add_f16_e32 v99, v103, v99
	v_pk_add_f16 v103, v35, v34
	v_pk_add_f16 v34, v34, v35 neg_lo:[0,1] neg_hi:[0,1]
	v_add_f16_sdwa v96, v25, v96 dst_sel:DWORD dst_unused:UNUSED_PAD src0_sel:WORD_1 src1_sel:DWORD
	v_pk_mul_f16 v35, v34, s15 op_sel_hi:[1,0]
	v_add_f16_sdwa v100, v25, v100 dst_sel:DWORD dst_unused:UNUSED_PAD src0_sel:WORD_1 src1_sel:DWORD
	v_add_f16_e32 v96, v105, v96
	v_fma_f16 v105, v33, s15, v104
	v_pk_fma_f16 v104, v103, s14, v35 op_sel:[0,0,1] op_sel_hi:[1,0,0]
	v_pk_fma_f16 v35, v103, s14, v35 op_sel:[0,0,1] op_sel_hi:[1,0,0] neg_lo:[0,0,1] neg_hi:[0,0,1]
	v_add_f16_e32 v100, v105, v100
	v_bfi_b32 v105, s0, v104, v35
	v_pk_add_f16 v84, v105, v84
	v_mul_f16_sdwa v105, v34, s22 dst_sel:DWORD dst_unused:UNUSED_PAD src0_sel:WORD_1 src1_sel:DWORD
	v_fma_f16 v106, v103, s21, v105
	v_add_f16_e32 v86, v106, v86
	v_mul_f16_sdwa v106, v103, s21 dst_sel:DWORD dst_unused:UNUSED_PAD src0_sel:WORD_1 src1_sel:DWORD
	v_fma_f16 v105, v103, s21, -v105
	v_add_f16_e32 v85, v105, v85
	v_fma_f16 v105, v34, s22, v106
	v_add_f16_e32 v87, v105, v87
	v_mul_f16_sdwa v105, v34, s25 dst_sel:DWORD dst_unused:UNUSED_PAD src0_sel:WORD_1 src1_sel:DWORD
	v_fma_f16 v107, v34, s26, v106
	v_fma_f16 v106, v103, s16, v105
	v_add_f16_e32 v90, v106, v90
	v_mul_f16_sdwa v106, v103, s16 dst_sel:DWORD dst_unused:UNUSED_PAD src0_sel:WORD_1 src1_sel:DWORD
	v_fma_f16 v105, v103, s16, -v105
	v_add_f16_e32 v89, v105, v89
	v_fma_f16 v105, v34, s25, v106
	s_movk_i32 s27, 0x3770
	v_add_f16_e32 v91, v105, v91
	v_mul_f16_sdwa v105, v34, s27 dst_sel:DWORD dst_unused:UNUSED_PAD src0_sel:WORD_1 src1_sel:DWORD
	v_add_f16_e32 v88, v107, v88
	v_fma_f16 v107, v34, s17, v106
	v_fma_f16 v106, v103, s2, v105
	v_add_f16_e32 v94, v106, v94
	v_mul_f16_sdwa v106, v103, s2 dst_sel:DWORD dst_unused:UNUSED_PAD src0_sel:WORD_1 src1_sel:DWORD
	v_fma_f16 v105, v103, s2, -v105
	v_add_f16_e32 v93, v105, v93
	v_fma_f16 v105, v34, s27, v106
	v_add_f16_e32 v95, v105, v95
	v_mul_f16_sdwa v105, v34, s5 dst_sel:DWORD dst_unused:UNUSED_PAD src0_sel:WORD_1 src1_sel:DWORD
	v_add_f16_e32 v92, v107, v92
	v_fma_f16 v107, v34, s4, v106
	v_fma_f16 v106, v103, s3, v105
	v_add_f16_e32 v98, v106, v98
	v_mul_f16_sdwa v106, v103, s3 dst_sel:DWORD dst_unused:UNUSED_PAD src0_sel:WORD_1 src1_sel:DWORD
	v_fma_f16 v105, v103, s3, -v105
	v_add_f16_e32 v97, v105, v97
	v_fma_f16 v105, v34, s5, v106
	v_add_f16_e32 v99, v105, v99
	v_pk_add_f16 v105, v32, v29
	v_pk_add_f16 v29, v29, v32 neg_lo:[0,1] neg_hi:[0,1]
	v_pk_mul_f16 v32, v29, s17 op_sel_hi:[1,0]
	v_add_f16_e32 v96, v107, v96
	v_fma_f16 v107, v34, s24, v106
	v_pk_fma_f16 v106, v105, s16, v32 op_sel:[0,0,1] op_sel_hi:[1,0,0]
	v_pk_fma_f16 v32, v105, s16, v32 op_sel:[0,0,1] op_sel_hi:[1,0,0] neg_lo:[0,0,1] neg_hi:[0,0,1]
	v_add_f16_e32 v100, v107, v100
	v_bfi_b32 v107, s0, v106, v32
	v_pk_add_f16 v84, v107, v84
	v_mul_f16_sdwa v107, v29, s23 dst_sel:DWORD dst_unused:UNUSED_PAD src0_sel:WORD_1 src1_sel:DWORD
	v_fma_f16 v108, v105, s18, v107
	v_add_f16_e32 v86, v108, v86
	v_mul_f16_sdwa v108, v105, s18 dst_sel:DWORD dst_unused:UNUSED_PAD src0_sel:WORD_1 src1_sel:DWORD
	v_fma_f16 v107, v105, s18, -v107
	v_add_f16_e32 v85, v107, v85
	v_fma_f16 v107, v29, s23, v108
	v_add_f16_e32 v87, v107, v87
	v_mul_f16_sdwa v107, v29, s27 dst_sel:DWORD dst_unused:UNUSED_PAD src0_sel:WORD_1 src1_sel:DWORD
	v_fma_f16 v109, v29, s19, v108
	v_fma_f16 v108, v105, s2, v107
	v_add_f16_e32 v90, v108, v90
	v_mul_f16_sdwa v108, v105, s2 dst_sel:DWORD dst_unused:UNUSED_PAD src0_sel:WORD_1 src1_sel:DWORD
	v_fma_f16 v107, v105, s2, -v107
	v_add_f16_e32 v89, v107, v89
	v_fma_f16 v107, v29, s27, v108
	v_add_f16_e32 v91, v107, v91
	v_mul_f16_sdwa v107, v29, s15 dst_sel:DWORD dst_unused:UNUSED_PAD src0_sel:WORD_1 src1_sel:DWORD
	v_add_f16_e32 v88, v109, v88
	v_fma_f16 v109, v29, s4, v108
	v_fma_f16 v108, v105, s14, v107
	v_add_f16_e32 v94, v108, v94
	v_mul_f16_sdwa v108, v105, s14 dst_sel:DWORD dst_unused:UNUSED_PAD src0_sel:WORD_1 src1_sel:DWORD
	v_fma_f16 v107, v105, s14, -v107
	v_add_f16_e32 v93, v107, v93
	v_fma_f16 v107, v29, s15, v108
	v_add_f16_e32 v95, v107, v95
	v_mul_f16_sdwa v107, v29, s26 dst_sel:DWORD dst_unused:UNUSED_PAD src0_sel:WORD_1 src1_sel:DWORD
	v_add_f16_e32 v92, v109, v92
	v_fma_f16 v109, v29, s20, v108
	v_fma_f16 v108, v105, s21, v107
	v_add_f16_e32 v98, v108, v98
	v_mul_f16_sdwa v108, v105, s21 dst_sel:DWORD dst_unused:UNUSED_PAD src0_sel:WORD_1 src1_sel:DWORD
	v_fma_f16 v107, v105, s21, -v107
	v_add_f16_e32 v97, v107, v97
	v_fma_f16 v107, v29, s26, v108
	v_add_f16_e32 v99, v107, v99
	v_pk_add_f16 v107, v31, v30
	v_pk_add_f16 v30, v30, v31 neg_lo:[0,1] neg_hi:[0,1]
	v_pk_mul_f16 v31, v30, s19 op_sel_hi:[1,0]
	v_add_f16_e32 v96, v109, v96
	v_fma_f16 v109, v29, s22, v108
	v_pk_fma_f16 v108, v107, s18, v31 op_sel:[0,0,1] op_sel_hi:[1,0,0]
	v_pk_fma_f16 v31, v107, s18, v31 op_sel:[0,0,1] op_sel_hi:[1,0,0] neg_lo:[0,0,1] neg_hi:[0,0,1]
	v_add_f16_e32 v100, v109, v100
	v_bfi_b32 v109, s0, v108, v31
	v_pk_add_f16 v84, v109, v84
	v_mul_f16_sdwa v109, v30, s20 dst_sel:DWORD dst_unused:UNUSED_PAD src0_sel:WORD_1 src1_sel:DWORD
	v_fma_f16 v110, v107, s14, v109
	v_add_f16_e32 v86, v110, v86
	v_mul_f16_sdwa v110, v107, s14 dst_sel:DWORD dst_unused:UNUSED_PAD src0_sel:WORD_1 src1_sel:DWORD
	v_fma_f16 v109, v107, s14, -v109
	v_add_f16_e32 v85, v109, v85
	v_fma_f16 v109, v30, s20, v110
	v_add_f16_e32 v87, v109, v87
	v_mul_f16_sdwa v109, v30, s5 dst_sel:DWORD dst_unused:UNUSED_PAD src0_sel:WORD_1 src1_sel:DWORD
	v_fma_f16 v111, v30, s15, v110
	v_fma_f16 v110, v107, s3, v109
	v_add_f16_e32 v90, v110, v90
	v_mul_f16_sdwa v110, v107, s3 dst_sel:DWORD dst_unused:UNUSED_PAD src0_sel:WORD_1 src1_sel:DWORD
	v_fma_f16 v109, v107, s3, -v109
	v_add_f16_e32 v89, v109, v89
	v_fma_f16 v109, v30, s5, v110
	;; [unrolled: 47-line block ×3, first 2 shown]
	v_add_f16_e32 v91, v111, v91
	v_mul_f16_sdwa v111, v27, s24 dst_sel:DWORD dst_unused:UNUSED_PAD src0_sel:WORD_1 src1_sel:DWORD
	v_add_f16_e32 v88, v113, v88
	v_fma_f16 v113, v27, s23, v112
	v_fma_f16 v112, v109, s3, v111
	v_add_f16_e32 v94, v112, v94
	v_mul_f16_sdwa v112, v109, s3 dst_sel:DWORD dst_unused:UNUSED_PAD src0_sel:WORD_1 src1_sel:DWORD
	v_fma_f16 v111, v109, s3, -v111
	v_add_f16_e32 v93, v111, v93
	v_fma_f16 v111, v27, s24, v112
	v_add_f16_e32 v95, v111, v95
	v_mul_f16_sdwa v111, v27, s17 dst_sel:DWORD dst_unused:UNUSED_PAD src0_sel:WORD_1 src1_sel:DWORD
	v_add_f16_e32 v92, v113, v92
	v_fma_f16 v113, v27, s5, v112
	v_fma_f16 v112, v109, s16, v111
	v_add_f16_e32 v98, v112, v98
	v_mul_f16_sdwa v112, v109, s16 dst_sel:DWORD dst_unused:UNUSED_PAD src0_sel:WORD_1 src1_sel:DWORD
	v_add_f16_e32 v96, v113, v96
	v_fma_f16 v113, v27, s25, v112
	s_waitcnt lgkmcnt(0)
	; wave barrier
	v_add_f16_e32 v100, v113, v100
	ds_write2_b32 v54, v80, v84 offset1:1
	v_pack_b32_f16 v80, v90, v92
	v_pack_b32_f16 v84, v86, v88
	ds_write2_b32 v54, v84, v80 offset0:2 offset1:3
	v_pack_b32_f16 v80, v98, v100
	v_pack_b32_f16 v84, v94, v96
	ds_write2_b32 v54, v84, v80 offset0:4 offset1:5
	v_pk_mul_f16 v80, v82, s21 op_sel_hi:[1,0]
	v_pk_fma_f16 v82, v26, s22, v80 op_sel:[0,0,1] op_sel_hi:[1,0,0]
	v_pk_fma_f16 v26, v26, s22, v80 op_sel:[0,0,1] op_sel_hi:[1,0,0] neg_lo:[1,0,0] neg_hi:[1,0,0]
	v_alignbit_b32 v80, s0, v25, 16
	v_alignbit_b32 v84, s0, v82, 16
	v_pk_add_f16 v80, v80, v82
	v_pk_mul_f16 v82, v101, s2 op_sel_hi:[1,0]
	v_pk_add_f16 v26, v25, v26 op_sel:[1,0] op_sel_hi:[0,1]
	v_pk_fma_f16 v86, v33, s27, v82 op_sel:[0,0,1] op_sel_hi:[1,0,0]
	v_pk_fma_f16 v33, v33, s27, v82 op_sel:[0,0,1] op_sel_hi:[1,0,0] neg_lo:[1,0,0] neg_hi:[1,0,0]
	v_pk_add_f16 v26, v33, v26
	v_pk_add_f16 v33, v86, v80
	v_pk_mul_f16 v80, v103, s18 op_sel_hi:[1,0]
	v_pk_fma_f16 v82, v34, s19, v80 op_sel:[0,0,1] op_sel_hi:[1,0,0]
	v_pk_fma_f16 v34, v34, s19, v80 op_sel:[0,0,1] op_sel_hi:[1,0,0] neg_lo:[1,0,0] neg_hi:[1,0,0]
	v_pk_add_f16 v26, v34, v26
	v_pk_mul_f16 v34, v105, s3 op_sel_hi:[1,0]
	v_pk_add_f16 v33, v82, v33
	v_pk_fma_f16 v80, v29, s24, v34 op_sel:[0,0,1] op_sel_hi:[1,0,0]
	v_pk_fma_f16 v29, v29, s24, v34 op_sel:[0,0,1] op_sel_hi:[1,0,0] neg_lo:[1,0,0] neg_hi:[1,0,0]
	v_pk_add_f16 v84, v25, v84
	v_alignbit_b32 v88, s0, v86, 16
	v_pk_add_f16 v26, v29, v26
	v_pk_add_f16 v29, v80, v33
	v_pk_mul_f16 v33, v107, s16 op_sel_hi:[1,0]
	v_pk_add_f16 v84, v88, v84
	v_alignbit_b32 v86, s0, v82, 16
	v_pk_fma_f16 v34, v30, s17, v33 op_sel:[0,0,1] op_sel_hi:[1,0,0]
	v_pk_fma_f16 v30, v30, s17, v33 op_sel:[0,0,1] op_sel_hi:[1,0,0] neg_lo:[1,0,0] neg_hi:[1,0,0]
	v_pk_add_f16 v84, v86, v84
	v_alignbit_b32 v82, s0, v80, 16
	v_pk_add_f16 v26, v30, v26
	v_pk_mul_f16 v30, v109, s14 op_sel_hi:[1,0]
	v_fma_f16 v111, v109, s16, -v111
	v_pk_add_f16 v82, v82, v84
	v_alignbit_b32 v80, s0, v34, 16
	v_pk_fma_f16 v33, v27, s20, v30 op_sel:[0,0,1] op_sel_hi:[1,0,0]
	v_add_f16_e32 v97, v111, v97
	v_fma_f16 v111, v27, s17, v112
	v_pk_add_f16 v80, v80, v82
	v_pk_add_f16 v29, v34, v29
	v_alignbit_b32 v34, s0, v33, 16
	v_pk_fma_f16 v27, v27, s20, v30 op_sel:[0,0,1] op_sel_hi:[1,0,0] neg_lo:[1,0,0] neg_hi:[1,0,0]
	v_pk_add_f16 v34, v34, v80
	v_pk_add_f16 v26, v27, v26
	;; [unrolled: 1-line block ×3, first 2 shown]
	v_add_f16_e32 v99, v111, v99
	v_alignbit_b32 v27, v27, v26, 16
	v_pack_b32_f16 v26, v34, v26
	ds_write2_b32 v54, v26, v27 offset0:6 offset1:7
	v_pack_b32_f16 v26, v93, v95
	v_pack_b32_f16 v27, v97, v99
	ds_write2_b32 v54, v27, v26 offset0:8 offset1:9
	v_pack_b32_f16 v26, v85, v87
	v_pack_b32_f16 v27, v89, v91
	ds_write2_b32 v54, v27, v26 offset0:10 offset1:11
	v_bfi_b32 v26, s0, v81, v83
	v_pk_add_f16 v25, v25, v26
	v_bfi_b32 v26, s0, v36, v102
	v_pk_add_f16 v25, v26, v25
	;; [unrolled: 2-line block ×6, first 2 shown]
	ds_write_b32 v54, v25 offset:48
	s_and_saveexec_b64 s[0:1], vcc
	s_cbranch_execz .LBB0_13
; %bb.12:
	v_add_f16_sdwa v25, v65, v55 dst_sel:DWORD dst_unused:UNUSED_PAD src0_sel:WORD_1 src1_sel:DWORD
	v_mul_f16_e32 v26, 0xbbc4, v25
	v_sub_f16_e32 v27, v20, v61
	v_add_f16_e32 v29, v60, v56
	v_fma_f16 v28, v27, s26, v26
	v_mul_f16_e32 v30, 0x3b15, v29
	v_sub_f16_e32 v31, v9, v14
	v_add_f16_e32 v28, v79, v28
	v_fma_f16 v32, v31, s4, v30
	v_add_f16_e32 v28, v32, v28
	v_add_f16_e32 v32, v62, v57
	v_mul_f16_e32 v33, 0xb9fd, v32
	v_sub_f16_e32 v34, v10, v13
	v_fma_f16 v35, v34, s23, v33
	v_add_f16_e32 v28, v35, v28
	v_add_f16_e32 v35, v64, v58
	v_mul_f16_e32 v36, 0x388b, v35
	v_sub_f16_e32 v54, v11, v16
	;; [unrolled: 5-line block ×4, first 2 shown]
	v_fma_f16 v86, v85, s15, v84
	v_sub_f16_sdwa v87, v55, v65 dst_sel:DWORD dst_unused:UNUSED_PAD src0_sel:DWORD src1_sel:WORD_1
	v_add_f16_e32 v28, v86, v28
	v_add_f16_e32 v86, v61, v20
	v_mul_f16_e32 v88, 0xb3a8, v87
	v_sub_f16_e32 v91, v56, v60
	v_fma_f16 v89, v86, s21, v88
	v_add_f16_e32 v90, v14, v9
	v_mul_f16_e32 v92, 0x3770, v91
	v_add_f16_e32 v89, v19, v89
	v_fma_f16 v93, v90, s2, v92
	v_sub_f16_e32 v94, v57, v62
	v_add_f16_e32 v89, v93, v89
	v_add_f16_e32 v93, v13, v10
	v_mul_f16_e32 v95, 0xb94e, v94
	v_fma_f16 v96, v93, s18, v95
	v_sub_f16_e32 v97, v58, v64
	v_add_f16_e32 v89, v96, v89
	v_add_f16_e32 v96, v16, v11
	v_mul_f16_e32 v98, 0x3a95, v97
	;; [unrolled: 5-line block ×4, first 2 shown]
	v_fma_f16 v105, v102, s14, v104
	v_add_f16_e32 v89, v105, v89
	v_mul_f16_e32 v105, 0xb9fd, v25
	v_fma_f16 v106, v27, s23, v105
	v_mul_f16_e32 v107, 0x2fb7, v29
	v_add_f16_e32 v106, v79, v106
	v_fma_f16 v108, v31, s15, v107
	v_add_f16_e32 v106, v108, v106
	v_mul_f16_e32 v108, 0x388b, v32
	v_fma_f16 v109, v34, s24, v108
	v_add_f16_e32 v106, v109, v106
	v_mul_f16_e32 v109, 0xbbc4, v35
	v_fma_f16 v110, v54, s22, v109
	v_add_f16_e32 v106, v110, v106
	v_mul_f16_e32 v110, 0x3b15, v80
	v_fma_f16 v111, v82, s4, v110
	v_add_f16_e32 v106, v111, v106
	v_mul_f16_e32 v111, 0xb5ac, v83
	v_fma_f16 v112, v85, s25, v111
	v_add_f16_e32 v106, v112, v106
	v_mul_f16_e32 v112, 0xb94e, v87
	v_fma_f16 v113, v86, s18, v112
	v_mul_f16_e32 v114, 0x3bf1, v91
	v_add_f16_e32 v113, v19, v113
	v_fma_f16 v115, v90, s14, v114
	v_add_f16_e32 v113, v115, v113
	v_mul_f16_e32 v115, 0xba95, v94
	v_fma_f16 v116, v93, s3, v115
	v_add_f16_e32 v113, v116, v113
	v_mul_f16_e32 v116, 0x33a8, v97
	v_fma_f16 v117, v96, s21, v116
	v_add_f16_e32 v113, v117, v113
	v_mul_f16_e32 v117, 0x3770, v100
	v_fma_f16 v118, v99, s2, v117
	v_add_f16_e32 v113, v118, v113
	v_mul_f16_e32 v118, 0xbb7b, v103
	;; [unrolled: 18-line block ×3, first 2 shown]
	v_fma_f16 v126, v85, s5, v125
	v_add_f16_e32 v120, v126, v120
	v_mul_f16_e32 v126, 0xbb7b, v87
	v_fma_f16 v127, v86, s16, v126
	v_mul_f16_e32 v128, 0x394e, v91
	v_add_f16_e32 v127, v19, v127
	v_fma_f16 v129, v90, s18, v128
	v_add_f16_e32 v127, v129, v127
	v_mul_f16_e32 v129, 0x3770, v94
	v_fma_f16 v130, v93, s2, v129
	v_add_f16_e32 v127, v130, v127
	v_mul_f16_e32 v130, 0xbbf1, v97
	v_add_f16_e32 v20, v20, v19
	v_fma_f16 v131, v96, s14, v130
	v_add_f16_e32 v9, v9, v20
	v_add_f16_e32 v127, v131, v127
	v_mul_f16_e32 v131, 0x33a8, v100
	v_add_f16_e32 v9, v10, v9
	v_fma_f16 v132, v99, s21, v131
	v_add_f16_e32 v9, v11, v9
	v_fma_f16 v11, v27, s22, v26
	v_add_f16_e32 v127, v132, v127
	v_mul_f16_e32 v132, 0x3a95, v103
	v_add_f16_e32 v9, v12, v9
	v_add_f16_e32 v11, v79, v11
	v_fma_f16 v12, v31, s27, v30
	v_fma_f16 v133, v102, s3, v132
	v_add_f16_e32 v11, v12, v11
	v_fma_f16 v12, v34, s19, v33
	v_add_f16_e32 v127, v133, v127
	v_mul_f16_e32 v133, 0x2fb7, v25
	v_add_f16_e32 v9, v65, v9
	v_add_f16_e32 v11, v12, v11
	v_fma_f16 v12, v54, s24, v36
	v_fma_f16 v134, v27, s20, v133
	v_mul_f16_e32 v135, 0xbbc4, v29
	v_add_f16_e32 v9, v18, v9
	v_add_f16_e32 v11, v12, v11
	v_fma_f16 v12, v82, s17, v81
	v_add_f16_e32 v134, v79, v134
	v_fma_f16 v136, v31, s26, v135
	v_add_f16_e32 v9, v15, v9
	v_add_f16_e32 v11, v12, v11
	v_fma_f16 v12, v85, s20, v84
	v_add_f16_e32 v134, v136, v134
	v_mul_f16_e32 v136, 0xb5ac, v32
	v_add_f16_e32 v9, v16, v9
	v_add_f16_e32 v11, v12, v11
	v_fma_f16 v12, v86, s21, -v88
	v_fma_f16 v137, v34, s17, v136
	v_add_f16_e32 v9, v13, v9
	v_add_f16_e32 v12, v19, v12
	v_fma_f16 v13, v90, s2, -v92
	v_add_f16_e32 v134, v137, v134
	v_mul_f16_e32 v137, 0x3b15, v35
	v_add_f16_e32 v12, v13, v12
	v_fma_f16 v13, v93, s18, -v95
	v_fma_f16 v138, v54, s4, v137
	v_add_f16_e32 v12, v13, v12
	v_fma_f16 v13, v96, s3, -v98
	v_add_f16_e32 v134, v138, v134
	v_mul_f16_e32 v138, 0x388b, v80
	v_add_f16_e32 v12, v13, v12
	v_fma_f16 v13, v99, s16, -v101
	v_fma_f16 v139, v82, s24, v138
	v_add_f16_e32 v12, v13, v12
	v_fma_f16 v13, v102, s14, -v104
	v_add_f16_e32 v134, v139, v134
	v_mul_f16_e32 v139, 0xb9fd, v83
	v_add_f16_e32 v12, v13, v12
	v_fma_f16 v13, v27, s19, v105
	v_fma_f16 v140, v85, s23, v139
	v_add_f16_e32 v9, v14, v9
	v_add_f16_e32 v13, v79, v13
	v_fma_f16 v14, v31, s20, v107
	v_add_f16_e32 v134, v140, v134
	v_mul_f16_e32 v140, 0xbbf1, v87
	v_add_f16_e32 v13, v14, v13
	v_fma_f16 v14, v34, s5, v108
	v_fma_f16 v141, v86, s14, v140
	v_mul_f16_e32 v142, 0xb3a8, v91
	v_add_f16_e32 v13, v14, v13
	v_fma_f16 v14, v54, s26, v109
	v_add_f16_e32 v141, v19, v141
	v_fma_f16 v143, v90, s21, v142
	;; [unrolled: 2-line block ×3, first 2 shown]
	v_add_f16_e32 v141, v143, v141
	v_mul_f16_e32 v143, 0x3b7b, v94
	v_add_f16_e32 v13, v14, v13
	v_fma_f16 v14, v85, s17, v111
	v_fma_f16 v144, v93, s16, v143
	v_add_f16_e32 v13, v14, v13
	v_fma_f16 v14, v86, s18, -v112
	v_add_f16_e32 v141, v144, v141
	v_mul_f16_e32 v144, 0x3770, v97
	v_add_f16_e32 v14, v19, v14
	v_fma_f16 v15, v90, s14, -v114
	v_fma_f16 v145, v96, s2, v144
	v_add_f16_e32 v14, v15, v14
	v_fma_f16 v15, v93, s3, -v115
	v_add_f16_e32 v141, v145, v141
	v_mul_f16_e32 v145, 0xba95, v100
	v_add_f16_e32 v14, v15, v14
	v_fma_f16 v15, v96, s21, -v116
	;; [unrolled: 7-line block ×3, first 2 shown]
	v_fma_f16 v147, v102, s18, v146
	v_add_f16_e32 v14, v15, v14
	v_fma_f16 v15, v27, s17, v119
	v_add_f16_e32 v141, v147, v141
	v_mul_f16_e32 v147, 0x388b, v25
	v_add_f16_e32 v15, v79, v15
	v_fma_f16 v16, v31, s23, v121
	v_fma_f16 v148, v27, s24, v147
	v_mul_f16_e32 v149, 0xb5ac, v29
	v_add_f16_e32 v15, v16, v15
	v_fma_f16 v16, v34, s27, v122
	v_add_f16_e32 v148, v79, v148
	v_fma_f16 v150, v31, s25, v149
	;; [unrolled: 2-line block ×3, first 2 shown]
	v_add_f16_e32 v148, v150, v148
	v_mul_f16_e32 v150, 0xbbc4, v32
	v_add_f16_e32 v15, v16, v15
	v_fma_f16 v16, v82, s26, v124
	v_fma_f16 v151, v34, s26, v150
	v_add_f16_e32 v15, v16, v15
	v_fma_f16 v16, v85, s24, v125
	v_add_f16_e32 v148, v151, v148
	v_mul_f16_e32 v151, 0xb9fd, v35
	v_add_f16_e32 v15, v16, v15
	v_fma_f16 v16, v86, s16, -v126
	v_fma_f16 v152, v54, s19, v151
	v_add_f16_e32 v16, v19, v16
	v_fma_f16 v18, v90, s18, -v128
	v_add_f16_e32 v148, v152, v148
	v_mul_f16_e32 v152, 0x2fb7, v80
	v_add_f16_e32 v16, v18, v16
	v_fma_f16 v18, v93, s2, -v129
	v_fma_f16 v153, v82, s15, v152
	v_add_f16_e32 v16, v18, v16
	v_fma_f16 v18, v96, s14, -v130
	;; [unrolled: 7-line block ×3, first 2 shown]
	v_add_f16_e32 v148, v154, v148
	v_mul_f16_e32 v154, 0xba95, v87
	v_add_f16_e32 v16, v18, v16
	v_fma_f16 v18, v27, s15, v133
	v_fma_f16 v155, v86, s3, v154
	v_mul_f16_e32 v156, 0xbb7b, v91
	v_add_f16_e32 v18, v79, v18
	v_fma_f16 v20, v31, s22, v135
	v_add_f16_e32 v155, v19, v155
	v_fma_f16 v157, v90, s16, v156
	;; [unrolled: 2-line block ×3, first 2 shown]
	v_add_f16_e32 v155, v157, v155
	v_mul_f16_e32 v157, 0xb3a8, v94
	v_add_f16_e32 v18, v20, v18
	v_fma_f16 v20, v54, s27, v137
	v_fma_f16 v158, v93, s21, v157
	v_add_f16_e32 v18, v20, v18
	v_fma_f16 v20, v82, s5, v138
	v_add_f16_e32 v155, v158, v155
	v_mul_f16_e32 v158, 0x394e, v97
	v_add_f16_e32 v18, v20, v18
	v_fma_f16 v20, v85, s19, v139
	v_fma_f16 v159, v96, s18, v158
	v_add_f16_e32 v18, v20, v18
	v_fma_f16 v20, v86, s14, -v140
	v_add_f16_e32 v155, v159, v155
	v_mul_f16_e32 v159, 0x3bf1, v100
	v_add_f16_e32 v20, v19, v20
	v_fma_f16 v26, v90, s21, -v142
	v_fma_f16 v160, v99, s14, v159
	v_add_f16_e32 v20, v26, v20
	v_fma_f16 v26, v93, s16, -v143
	v_add_f16_e32 v155, v160, v155
	v_mul_f16_e32 v160, 0x3770, v103
	v_add_f16_e32 v20, v26, v20
	v_fma_f16 v26, v96, s2, -v144
	v_fma_f16 v161, v102, s2, v160
	v_mul_f16_e32 v25, 0x3b15, v25
	v_add_f16_e32 v20, v26, v20
	v_fma_f16 v26, v99, s3, -v145
	v_add_f16_e32 v155, v161, v155
	v_fma_f16 v161, v27, s27, v25
	v_mul_f16_e32 v29, 0x388b, v29
	v_add_f16_e32 v20, v26, v20
	v_fma_f16 v26, v102, s18, -v146
	v_add_f16_e32 v161, v79, v161
	v_fma_f16 v162, v31, s24, v29
	v_mul_f16_e32 v32, 0x2fb7, v32
	v_add_f16_e32 v10, v55, v79
	v_add_f16_e32 v20, v26, v20
	v_fma_f16 v26, v27, s5, v147
	v_fma_f16 v25, v27, s4, v25
	v_add_f16_e32 v161, v162, v161
	v_fma_f16 v162, v34, s20, v32
	v_mul_f16_e32 v35, 0xb5ac, v35
	v_add_f16_e32 v10, v56, v10
	v_add_f16_e32 v26, v79, v26
	v_fma_f16 v30, v31, s17, v149
	v_add_f16_e32 v25, v79, v25
	v_fma_f16 v27, v31, s5, v29
	v_add_f16_e32 v161, v162, v161
	v_fma_f16 v162, v54, s25, v35
	v_mul_f16_e32 v80, 0xb9fd, v80
	v_add_f16_e32 v10, v57, v10
	v_add_f16_e32 v26, v30, v26
	v_fma_f16 v30, v34, s22, v150
	v_add_f16_e32 v25, v27, v25
	;; [unrolled: 8-line block ×5, first 2 shown]
	v_fma_f16 v27, v85, s22, v83
	v_add_f16_e32 v162, v19, v162
	v_fma_f16 v163, v90, s3, v91
	v_mul_f16_e32 v94, 0xbbf1, v94
	v_add_f16_e32 v10, v73, v10
	v_add_f16_e32 v26, v30, v26
	v_fma_f16 v30, v86, s3, -v154
	v_add_f16_e32 v25, v27, v25
	v_fma_f16 v27, v86, s2, -v87
	v_add_f16_e32 v162, v163, v162
	v_fma_f16 v163, v93, s14, v94
	v_mul_f16_e32 v97, 0xbb7b, v97
	v_add_f16_e32 v10, v63, v10
	v_add_f16_e32 v30, v19, v30
	;; [unrolled: 1-line block ×3, first 2 shown]
	v_fma_f16 v27, v90, s3, -v91
	v_add_f16_e32 v162, v163, v162
	v_fma_f16 v163, v96, s16, v97
	v_mul_f16_e32 v100, 0xb94e, v100
	v_add_f16_e32 v10, v64, v10
	v_add_f16_e32 v19, v27, v19
	v_fma_f16 v27, v93, s14, -v94
	v_add_f16_e32 v162, v163, v162
	v_fma_f16 v163, v99, s18, v100
	v_mul_f16_e32 v103, 0xb3a8, v103
	v_add_f16_e32 v10, v62, v10
	v_add_f16_e32 v19, v27, v19
	v_fma_f16 v27, v96, s16, -v97
	v_add_f16_e32 v162, v163, v162
	v_fma_f16 v163, v102, s21, v103
	v_add_f16_e32 v10, v60, v10
	v_add_f16_e32 v19, v27, v19
	v_fma_f16 v27, v99, s18, -v100
	v_add_f16_e32 v162, v163, v162
	v_add_f16_e32 v9, v61, v9
	v_add_f16_sdwa v10, v65, v10 dst_sel:DWORD dst_unused:UNUSED_PAD src0_sel:WORD_1 src1_sel:DWORD
	v_fma_f16 v33, v90, s16, -v156
	v_add_f16_e32 v19, v27, v19
	v_fma_f16 v27, v102, s21, -v103
	v_add_f16_e32 v30, v33, v30
	;; [unrolled: 2-line block ×3, first 2 shown]
	v_pack_b32_f16 v27, v162, v161
	v_pack_b32_f16 v9, v9, v10
	v_add_f16_e32 v30, v33, v30
	v_fma_f16 v33, v96, s18, -v158
	ds_write2_b32 v37, v9, v27 offset0:169 offset1:170
	v_pack_b32_f16 v9, v141, v134
	v_pack_b32_f16 v10, v155, v148
	v_add_f16_e32 v30, v33, v30
	v_fma_f16 v33, v99, s14, -v159
	ds_write2_b32 v37, v10, v9 offset0:171 offset1:172
	;; [unrolled: 5-line block ×3, first 2 shown]
	v_pack_b32_f16 v9, v12, v11
	v_pack_b32_f16 v10, v89, v28
	v_add_f16_e32 v30, v33, v30
	ds_write2_b32 v37, v10, v9 offset0:175 offset1:176
	v_pack_b32_f16 v9, v16, v15
	v_pack_b32_f16 v10, v14, v13
	ds_write2_b32 v37, v10, v9 offset0:177 offset1:178
	v_pack_b32_f16 v9, v30, v26
	v_pack_b32_f16 v10, v20, v18
	ds_write2_b32 v37, v10, v9 offset0:179 offset1:180
	v_pack_b32_f16 v9, v19, v25
	ds_write_b32 v37, v9 offset:724
.LBB0_13:
	s_or_b64 exec, exec, s[0:1]
	s_waitcnt lgkmcnt(0)
	; wave barrier
	s_waitcnt lgkmcnt(0)
	ds_read2_b32 v[9:10], v39 offset1:13
	ds_read2_b32 v[11:12], v39 offset0:78 offset1:91
	ds_read2_b32 v[13:14], v39 offset0:104 offset1:117
	;; [unrolled: 1-line block ×6, first 2 shown]
	s_waitcnt lgkmcnt(5)
	v_lshrrev_b32_e32 v29, 16, v12
	v_mul_f16_sdwa v59, v66, v29 dst_sel:DWORD dst_unused:UNUSED_PAD src0_sel:WORD_1 src1_sel:DWORD
	s_waitcnt lgkmcnt(4)
	v_lshrrev_b32_e32 v31, 16, v13
	v_fma_f16 v59, v66, v12, v59
	v_mul_f16_sdwa v12, v66, v12 dst_sel:DWORD dst_unused:UNUSED_PAD src0_sel:WORD_1 src1_sel:DWORD
	v_fma_f16 v12, v66, v29, -v12
	v_mul_f16_sdwa v29, v66, v31 dst_sel:DWORD dst_unused:UNUSED_PAD src0_sel:WORD_1 src1_sel:DWORD
	v_lshrrev_b32_e32 v33, 16, v14
	v_fma_f16 v29, v66, v13, v29
	v_mul_f16_sdwa v13, v66, v13 dst_sel:DWORD dst_unused:UNUSED_PAD src0_sel:WORD_1 src1_sel:DWORD
	v_fma_f16 v13, v66, v31, -v13
	v_mul_f16_sdwa v31, v72, v33 dst_sel:DWORD dst_unused:UNUSED_PAD src0_sel:WORD_1 src1_sel:DWORD
	s_waitcnt lgkmcnt(2)
	v_lshrrev_b32_e32 v35, 16, v18
	v_fma_f16 v31, v72, v14, v31
	v_mul_f16_sdwa v14, v72, v14 dst_sel:DWORD dst_unused:UNUSED_PAD src0_sel:WORD_1 src1_sel:DWORD
	v_fma_f16 v14, v72, v33, -v14
	v_mul_f16_sdwa v33, v70, v35 dst_sel:DWORD dst_unused:UNUSED_PAD src0_sel:WORD_1 src1_sel:DWORD
	v_lshrrev_b32_e32 v54, 16, v19
	v_fma_f16 v33, v70, v18, v33
	v_mul_f16_sdwa v18, v70, v18 dst_sel:DWORD dst_unused:UNUSED_PAD src0_sel:WORD_1 src1_sel:DWORD
	v_fma_f16 v18, v70, v35, -v18
	;; [unrolled: 11-line block ×3, first 2 shown]
	v_mul_f16_sdwa v56, v67, v58 dst_sel:DWORD dst_unused:UNUSED_PAD src0_sel:WORD_1 src1_sel:DWORD
	v_lshrrev_b32_e32 v20, 16, v9
	v_fma_f16 v56, v67, v28, v56
	v_mul_f16_sdwa v28, v67, v28 dst_sel:DWORD dst_unused:UNUSED_PAD src0_sel:WORD_1 src1_sel:DWORD
	v_lshrrev_b32_e32 v30, 16, v10
	v_fma_f16 v28, v67, v58, -v28
	v_sub_f16_e32 v58, v9, v59
	v_sub_f16_e32 v12, v20, v12
	v_lshrrev_b32_e32 v32, 16, v15
	v_fma_f16 v9, v9, 2.0, -v58
	v_fma_f16 v20, v20, 2.0, -v12
	v_sub_f16_e32 v29, v10, v29
	v_sub_f16_e32 v13, v30, v13
	v_lshrrev_b32_e32 v34, 16, v16
	v_fma_f16 v10, v10, 2.0, -v29
	v_fma_f16 v30, v30, 2.0, -v13
	v_sub_f16_e32 v31, v15, v31
	v_sub_f16_e32 v14, v32, v14
	v_pack_b32_f16 v9, v9, v20
	v_pack_b32_f16 v12, v58, v12
	v_lshrrev_b32_e32 v36, 16, v25
	v_fma_f16 v15, v15, 2.0, -v31
	v_fma_f16 v32, v32, 2.0, -v14
	v_sub_f16_e32 v33, v16, v33
	v_sub_f16_e32 v18, v34, v18
	s_waitcnt lgkmcnt(0)
	; wave barrier
	ds_write2_b32 v39, v9, v12 offset1:13
	v_pack_b32_f16 v9, v10, v30
	v_pack_b32_f16 v10, v29, v13
	v_lshrrev_b32_e32 v55, 16, v26
	v_fma_f16 v16, v16, 2.0, -v33
	v_fma_f16 v34, v34, 2.0, -v18
	v_sub_f16_e32 v35, v25, v35
	v_sub_f16_e32 v19, v36, v19
	ds_write2_b32 v39, v9, v10 offset0:26 offset1:39
	v_pack_b32_f16 v9, v15, v32
	v_pack_b32_f16 v10, v31, v14
	v_lshrrev_b32_e32 v57, 16, v11
	v_fma_f16 v25, v25, 2.0, -v35
	v_fma_f16 v36, v36, 2.0, -v19
	v_sub_f16_e32 v54, v26, v54
	v_sub_f16_e32 v27, v55, v27
	ds_write2_b32 v74, v9, v10 offset0:52 offset1:65
	v_pack_b32_f16 v9, v16, v34
	v_pack_b32_f16 v10, v33, v18
	v_fma_f16 v26, v26, 2.0, -v54
	v_fma_f16 v55, v55, 2.0, -v27
	v_sub_f16_e32 v56, v11, v56
	v_sub_f16_e32 v28, v57, v28
	ds_write2_b32 v75, v9, v10 offset0:78 offset1:91
	v_pack_b32_f16 v9, v25, v36
	v_pack_b32_f16 v10, v35, v19
	v_fma_f16 v11, v11, 2.0, -v56
	v_fma_f16 v57, v57, 2.0, -v28
	ds_write2_b32 v76, v9, v10 offset0:104 offset1:117
	v_pack_b32_f16 v9, v26, v55
	v_pack_b32_f16 v10, v54, v27
	ds_write2_b32 v77, v9, v10 offset0:130 offset1:143
	v_pack_b32_f16 v9, v11, v57
	v_pack_b32_f16 v10, v56, v28
	ds_write2_b32 v78, v9, v10 offset0:156 offset1:169
	s_waitcnt lgkmcnt(0)
	; wave barrier
	s_waitcnt lgkmcnt(0)
	ds_read2_b32 v[9:10], v39 offset0:26 offset1:39
	ds_read2_b32 v[11:12], v39 offset1:13
	ds_read2_b32 v[13:14], v39 offset0:52 offset1:65
	ds_read2_b32 v[15:16], v39 offset0:78 offset1:91
	;; [unrolled: 1-line block ×5, first 2 shown]
	s_waitcnt lgkmcnt(4)
	v_lshrrev_b32_e32 v29, 16, v13
	s_waitcnt lgkmcnt(3)
	v_lshrrev_b32_e32 v30, 16, v15
	v_lshrrev_b32_e32 v20, 16, v9
	v_mul_f16_sdwa v57, v0, v20 dst_sel:DWORD dst_unused:UNUSED_PAD src0_sel:WORD_1 src1_sel:DWORD
	v_fma_f16 v57, v0, v9, v57
	v_mul_f16_sdwa v9, v0, v9 dst_sel:DWORD dst_unused:UNUSED_PAD src0_sel:WORD_1 src1_sel:DWORD
	v_fma_f16 v0, v0, v20, -v9
	v_mul_f16_sdwa v9, v1, v29 dst_sel:DWORD dst_unused:UNUSED_PAD src0_sel:WORD_1 src1_sel:DWORD
	v_fma_f16 v9, v1, v13, v9
	v_mul_f16_sdwa v13, v1, v13 dst_sel:DWORD dst_unused:UNUSED_PAD src0_sel:WORD_1 src1_sel:DWORD
	v_fma_f16 v1, v1, v29, -v13
	v_mul_f16_sdwa v13, v2, v30 dst_sel:DWORD dst_unused:UNUSED_PAD src0_sel:WORD_1 src1_sel:DWORD
	s_waitcnt lgkmcnt(2)
	v_lshrrev_b32_e32 v31, 16, v18
	v_fma_f16 v13, v2, v15, v13
	v_mul_f16_sdwa v15, v2, v15 dst_sel:DWORD dst_unused:UNUSED_PAD src0_sel:WORD_1 src1_sel:DWORD
	v_fma_f16 v2, v2, v30, -v15
	v_mul_f16_sdwa v15, v3, v31 dst_sel:DWORD dst_unused:UNUSED_PAD src0_sel:WORD_1 src1_sel:DWORD
	s_waitcnt lgkmcnt(1)
	v_lshrrev_b32_e32 v32, 16, v25
	v_fma_f16 v15, v3, v18, v15
	v_mul_f16_sdwa v18, v3, v18 dst_sel:DWORD dst_unused:UNUSED_PAD src0_sel:WORD_1 src1_sel:DWORD
	s_waitcnt lgkmcnt(0)
	v_lshrrev_b32_e32 v33, 16, v27
	v_fma_f16 v3, v3, v31, -v18
	v_mul_f16_sdwa v18, v21, v32 dst_sel:DWORD dst_unused:UNUSED_PAD src0_sel:WORD_1 src1_sel:DWORD
	v_mul_f16_sdwa v20, v21, v25 dst_sel:DWORD dst_unused:UNUSED_PAD src0_sel:WORD_1 src1_sel:DWORD
	v_lshrrev_b32_e32 v34, 16, v10
	v_fma_f16 v18, v21, v25, v18
	v_fma_f16 v20, v21, v32, -v20
	v_mul_f16_sdwa v21, v22, v33 dst_sel:DWORD dst_unused:UNUSED_PAD src0_sel:WORD_1 src1_sel:DWORD
	v_mul_f16_sdwa v25, v22, v27 dst_sel:DWORD dst_unused:UNUSED_PAD src0_sel:WORD_1 src1_sel:DWORD
	v_fma_f16 v21, v22, v27, v21
	v_fma_f16 v22, v22, v33, -v25
	v_mul_f16_sdwa v25, v4, v34 dst_sel:DWORD dst_unused:UNUSED_PAD src0_sel:WORD_1 src1_sel:DWORD
	v_lshrrev_b32_e32 v35, 16, v14
	v_fma_f16 v25, v4, v10, v25
	v_mul_f16_sdwa v10, v4, v10 dst_sel:DWORD dst_unused:UNUSED_PAD src0_sel:WORD_1 src1_sel:DWORD
	v_fma_f16 v4, v4, v34, -v10
	v_mul_f16_sdwa v10, v5, v35 dst_sel:DWORD dst_unused:UNUSED_PAD src0_sel:WORD_1 src1_sel:DWORD
	v_lshrrev_b32_e32 v36, 16, v16
	v_fma_f16 v10, v5, v14, v10
	v_mul_f16_sdwa v14, v5, v14 dst_sel:DWORD dst_unused:UNUSED_PAD src0_sel:WORD_1 src1_sel:DWORD
	;; [unrolled: 5-line block ×5, first 2 shown]
	v_fma_f16 v23, v23, v55, -v26
	v_mul_f16_sdwa v26, v24, v56 dst_sel:DWORD dst_unused:UNUSED_PAD src0_sel:WORD_1 src1_sel:DWORD
	v_mul_f16_sdwa v27, v24, v28 dst_sel:DWORD dst_unused:UNUSED_PAD src0_sel:WORD_1 src1_sel:DWORD
	v_fma_f16 v26, v24, v28, v26
	v_fma_f16 v24, v24, v56, -v27
	v_add_f16_e32 v27, v57, v21
	v_add_f16_e32 v28, v0, v22
	v_sub_f16_e32 v0, v0, v22
	v_add_f16_e32 v22, v9, v18
	v_add_f16_e32 v29, v1, v20
	v_sub_f16_e32 v21, v57, v21
	v_sub_f16_e32 v9, v9, v18
	;; [unrolled: 1-line block ×3, first 2 shown]
	v_add_f16_e32 v18, v13, v15
	v_add_f16_e32 v20, v2, v3
	v_sub_f16_e32 v13, v15, v13
	v_sub_f16_e32 v2, v3, v2
	v_add_f16_e32 v3, v22, v27
	v_add_f16_e32 v15, v29, v28
	v_sub_f16_e32 v30, v22, v27
	v_sub_f16_e32 v31, v29, v28
	;; [unrolled: 1-line block ×6, first 2 shown]
	v_add_f16_e32 v32, v13, v9
	v_add_f16_e32 v33, v2, v1
	v_sub_f16_e32 v34, v13, v9
	v_sub_f16_e32 v35, v2, v1
	;; [unrolled: 1-line block ×4, first 2 shown]
	v_add_f16_e32 v3, v18, v3
	v_add_f16_e32 v15, v20, v15
	v_sub_f16_e32 v13, v21, v13
	v_sub_f16_e32 v2, v0, v2
	v_add_f16_e32 v18, v32, v21
	v_add_f16_e32 v0, v33, v0
	;; [unrolled: 1-line block ×3, first 2 shown]
	v_add_f16_sdwa v11, v11, v15 dst_sel:DWORD dst_unused:UNUSED_PAD src0_sel:WORD_1 src1_sel:DWORD
	v_mul_f16_e32 v21, 0x3a52, v27
	v_mul_f16_e32 v27, 0x3a52, v28
	s_movk_i32 s0, 0x2b26
	v_mul_f16_e32 v28, 0x2b26, v22
	v_mul_f16_e32 v32, 0x2b26, v29
	;; [unrolled: 1-line block ×4, first 2 shown]
	s_mov_b32 s1, 0xbb00
	v_mul_f16_e32 v35, 0xbb00, v9
	v_mul_f16_e32 v36, 0xbb00, v1
	s_mov_b32 s2, 0xbcab
	s_movk_i32 s3, 0x39e0
	s_mov_b32 s4, 0xb9e0
	s_mov_b32 s5, 0xb574
	s_movk_i32 s14, 0x3574
	v_fma_f16 v3, v3, s2, v20
	v_fma_f16 v15, v15, s2, v11
	;; [unrolled: 1-line block ×4, first 2 shown]
	v_fma_f16 v28, v30, s3, -v28
	v_fma_f16 v32, v31, s3, -v32
	;; [unrolled: 1-line block ×4, first 2 shown]
	v_fma_f16 v30, v13, s5, v33
	v_fma_f16 v31, v2, s5, v34
	v_fma_f16 v1, v1, s1, -v34
	v_fma_f16 v13, v13, s14, -v35
	;; [unrolled: 1-line block ×3, first 2 shown]
	s_mov_b32 s15, 0xb70e
	v_fma_f16 v9, v9, s1, -v33
	v_add_f16_e32 v22, v22, v3
	v_add_f16_e32 v29, v29, v15
	;; [unrolled: 1-line block ×6, first 2 shown]
	v_fma_f16 v21, v18, s15, v30
	v_fma_f16 v27, v0, s15, v31
	;; [unrolled: 1-line block ×6, first 2 shown]
	v_add_f16_e32 v2, v27, v22
	v_sub_f16_e32 v18, v29, v21
	v_add_f16_e32 v30, v0, v3
	v_sub_f16_e32 v31, v15, v13
	v_sub_f16_e32 v0, v3, v0
	v_add_f16_e32 v3, v13, v15
	v_sub_f16_e32 v13, v22, v27
	v_add_f16_e32 v15, v21, v29
	v_add_f16_e32 v21, v25, v26
	;; [unrolled: 1-line block ×3, first 2 shown]
	v_sub_f16_e32 v25, v25, v26
	v_sub_f16_e32 v4, v4, v24
	v_add_f16_e32 v24, v10, v19
	v_add_f16_e32 v26, v5, v23
	v_sub_f16_e32 v10, v10, v19
	v_sub_f16_e32 v5, v5, v23
	v_add_f16_e32 v19, v14, v16
	v_add_f16_e32 v23, v6, v7
	;; [unrolled: 4-line block ×3, first 2 shown]
	v_sub_f16_e32 v33, v28, v1
	v_add_f16_e32 v34, v9, v32
	v_add_f16_e32 v1, v1, v28
	v_sub_f16_e32 v9, v32, v9
	v_sub_f16_e32 v27, v24, v21
	;; [unrolled: 1-line block ×7, first 2 shown]
	v_add_f16_e32 v29, v14, v10
	v_add_f16_e32 v32, v6, v5
	v_sub_f16_e32 v35, v14, v10
	v_sub_f16_e32 v36, v6, v5
	;; [unrolled: 1-line block ×4, first 2 shown]
	v_add_f16_e32 v7, v19, v7
	v_add_f16_e32 v16, v23, v16
	v_sub_f16_e32 v14, v25, v14
	v_sub_f16_e32 v6, v4, v6
	v_add_f16_e32 v19, v29, v25
	v_add_f16_e32 v4, v32, v4
	;; [unrolled: 1-line block ×3, first 2 shown]
	v_add_f16_sdwa v12, v12, v16 dst_sel:DWORD dst_unused:UNUSED_PAD src0_sel:WORD_1 src1_sel:DWORD
	v_mul_f16_e32 v21, 0x3a52, v21
	v_mul_f16_e32 v22, 0x3a52, v22
	;; [unrolled: 1-line block ×8, first 2 shown]
	v_pack_b32_f16 v2, v2, v18
	v_pack_b32_f16 v18, v30, v31
	v_fma_f16 v7, v7, s2, v23
	v_fma_f16 v16, v16, s2, v12
	;; [unrolled: 1-line block ×4, first 2 shown]
	v_fma_f16 v25, v27, s3, -v25
	v_fma_f16 v29, v28, s3, -v29
	;; [unrolled: 1-line block ×4, first 2 shown]
	v_fma_f16 v27, v14, s5, v32
	v_fma_f16 v28, v6, s5, v35
	v_fma_f16 v5, v5, s1, -v35
	v_fma_f16 v14, v14, s14, -v36
	v_fma_f16 v6, v6, s14, -v54
	ds_write2_b32 v39, v2, v18 offset0:26 offset1:52
	v_pack_b32_f16 v2, v33, v34
	v_pack_b32_f16 v1, v1, v9
	v_fma_f16 v10, v10, s1, -v32
	v_add_f16_e32 v24, v24, v7
	v_add_f16_e32 v26, v26, v16
	;; [unrolled: 1-line block ×6, first 2 shown]
	v_fma_f16 v21, v19, s15, v27
	v_fma_f16 v22, v4, s15, v28
	;; [unrolled: 1-line block ×5, first 2 shown]
	ds_write2_b32 v39, v2, v1 offset0:78 offset1:104
	v_pack_b32_f16 v0, v0, v3
	v_pack_b32_f16 v1, v13, v15
	v_fma_f16 v10, v19, s15, v10
	v_add_f16_e32 v6, v22, v24
	v_sub_f16_e32 v19, v26, v21
	v_add_f16_e32 v27, v4, v7
	v_sub_f16_e32 v28, v16, v14
	v_pack_b32_f16 v11, v20, v11
	ds_write2_b32 v39, v0, v1 offset0:130 offset1:156
	v_pack_b32_f16 v0, v23, v12
	v_sub_f16_e32 v32, v25, v5
	v_add_f16_e32 v35, v10, v29
	v_add_f16_e32 v5, v5, v25
	v_sub_f16_e32 v10, v29, v10
	ds_write2_b32 v39, v11, v0 offset1:13
	v_pack_b32_f16 v0, v6, v19
	v_pack_b32_f16 v1, v27, v28
	v_sub_f16_e32 v4, v7, v4
	v_add_f16_e32 v7, v14, v16
	v_sub_f16_e32 v14, v24, v22
	v_add_f16_e32 v16, v21, v26
	ds_write2_b32 v17, v0, v1 offset0:26 offset1:52
	v_pack_b32_f16 v0, v32, v35
	v_pack_b32_f16 v1, v5, v10
	ds_write2_b32 v17, v0, v1 offset0:78 offset1:104
	v_pack_b32_f16 v0, v4, v7
	v_pack_b32_f16 v1, v14, v16
	ds_write2_b32 v17, v0, v1 offset0:130 offset1:156
	s_waitcnt lgkmcnt(0)
	; wave barrier
	s_waitcnt lgkmcnt(0)
	ds_read2_b32 v[2:3], v39 offset1:14
	s_mov_b32 s14, 0x16816817
	s_mov_b32 s15, 0x3f768168
	s_movk_i32 s17, 0x1ff
	s_mov_b32 s16, 0x8000
	s_waitcnt lgkmcnt(0)
	v_lshrrev_b32_e32 v9, 16, v2
	v_mul_f16_sdwa v0, v53, v9 dst_sel:DWORD dst_unused:UNUSED_PAD src0_sel:WORD_1 src1_sel:DWORD
	v_fma_f16 v0, v53, v2, v0
	v_cvt_f32_f16_e32 v4, v0
	v_mad_u64_u32 v[0:1], s[0:1], s10, v8, 0
	s_movk_i32 s10, 0xffe
	v_cvt_f64_f32_e32 v[4:5], v4
	v_mad_u64_u32 v[6:7], s[0:1], s11, v8, v[1:2]
	v_mul_f16_sdwa v2, v53, v2 dst_sel:DWORD dst_unused:UNUSED_PAD src0_sel:WORD_1 src1_sel:DWORD
	v_mul_f64 v[4:5], v[4:5], s[14:15]
	v_mov_b32_e32 v1, v6
	v_fma_f16 v2, v53, v9, -v2
	s_movk_i32 s11, 0x40f
	v_lshlrev_b64 v[0:1], 2, v[0:1]
	s_mul_hi_u32 s4, s8, 56
	s_mul_i32 s5, s8, 56
	v_and_or_b32 v4, v5, s17, v4
	v_cmp_ne_u32_e64 s[0:1], 0, v4
	v_cndmask_b32_e64 v4, 0, 1, s[0:1]
	v_lshrrev_b32_e32 v6, 8, v5
	v_bfe_u32 v7, v5, 20, 11
	v_and_or_b32 v4, v6, s10, v4
	v_sub_u32_e32 v8, 0x3f1, v7
	v_or_b32_e32 v6, 0x1000, v4
	v_med3_i32 v8, v8, 0, 13
	v_lshrrev_b32_e32 v10, v8, v6
	v_lshlrev_b32_e32 v8, v8, v10
	v_cmp_ne_u32_e64 s[0:1], v8, v6
	v_cndmask_b32_e64 v6, 0, 1, s[0:1]
	v_add_u32_e32 v8, 0xfffffc10, v7
	v_or_b32_e32 v6, v10, v6
	v_lshl_or_b32 v7, v8, 12, v4
	v_cmp_gt_i32_e64 s[0:1], 1, v8
	v_cndmask_b32_e64 v6, v7, v6, s[0:1]
	v_and_b32_e32 v7, 7, v6
	v_cmp_lt_i32_e64 s[0:1], 5, v7
	v_cmp_eq_u32_e64 s[2:3], 3, v7
	v_cvt_f32_f16_e32 v7, v2
	v_lshrrev_b32_e32 v6, 2, v6
	s_or_b64 s[0:1], s[2:3], s[0:1]
	v_addc_co_u32_e64 v9, s[0:1], 0, v6, s[0:1]
	v_cvt_f64_f32_e32 v[6:7], v7
	v_mov_b32_e32 v2, 0x7c00
	v_cmp_gt_i32_e64 s[0:1], 31, v8
	v_cndmask_b32_e64 v9, v2, v9, s[0:1]
	v_mul_f64 v[6:7], v[6:7], s[14:15]
	v_cmp_ne_u32_e64 s[0:1], 0, v4
	v_cndmask_b32_e64 v4, 0, 1, s[0:1]
	v_lshl_or_b32 v4, v4, 9, v2
	v_cmp_eq_u32_e64 s[0:1], s11, v8
	v_cndmask_b32_e64 v4, v9, v4, s[0:1]
	v_lshrrev_b32_e32 v5, 16, v5
	v_and_or_b32 v8, v5, s16, v4
	v_and_or_b32 v4, v7, s17, v6
	v_cmp_ne_u32_e64 s[0:1], 0, v4
	v_cndmask_b32_e64 v4, 0, 1, s[0:1]
	v_lshrrev_b32_e32 v5, 8, v7
	v_bfe_u32 v6, v7, 20, 11
	v_and_or_b32 v4, v5, s10, v4
	v_sub_u32_e32 v9, 0x3f1, v6
	v_or_b32_e32 v5, 0x1000, v4
	v_med3_i32 v9, v9, 0, 13
	v_lshrrev_b32_e32 v10, v9, v5
	v_lshlrev_b32_e32 v9, v9, v10
	v_cmp_ne_u32_e64 s[0:1], v9, v5
	v_cndmask_b32_e64 v5, 0, 1, s[0:1]
	v_add_u32_e32 v6, 0xfffffc10, v6
	v_or_b32_e32 v5, v10, v5
	v_lshl_or_b32 v9, v6, 12, v4
	v_cmp_gt_i32_e64 s[0:1], 1, v6
	v_cndmask_b32_e64 v5, v9, v5, s[0:1]
	v_and_b32_e32 v9, 7, v5
	v_cmp_lt_i32_e64 s[0:1], 5, v9
	v_cmp_eq_u32_e64 s[2:3], 3, v9
	v_lshrrev_b32_e32 v5, 2, v5
	s_or_b64 s[0:1], s[2:3], s[0:1]
	v_addc_co_u32_e64 v5, s[0:1], 0, v5, s[0:1]
	v_cmp_gt_i32_e64 s[0:1], 31, v6
	v_cndmask_b32_e64 v9, v2, v5, s[0:1]
	v_cmp_ne_u32_e64 s[0:1], 0, v4
	v_cndmask_b32_e64 v4, 0, 1, s[0:1]
	v_lshl_or_b32 v10, v4, 9, v2
	v_mad_u64_u32 v[4:5], s[0:1], s8, v52, 0
	v_cmp_eq_u32_e64 s[0:1], s11, v6
	v_cndmask_b32_e64 v9, v9, v10, s[0:1]
	v_mad_u64_u32 v[5:6], s[0:1], s9, v52, v[5:6]
	v_lshrrev_b32_e32 v10, 16, v3
	v_mul_f16_sdwa v6, v51, v10 dst_sel:DWORD dst_unused:UNUSED_PAD src0_sel:WORD_1 src1_sel:DWORD
	v_fma_f16 v6, v51, v3, v6
	v_cvt_f32_f16_e32 v6, v6
	v_lshrrev_b32_e32 v7, 16, v7
	v_and_or_b32 v9, v7, s16, v9
	v_and_b32_e32 v8, 0xffff, v8
	v_cvt_f64_f32_e32 v[6:7], v6
	v_lshl_or_b32 v8, v9, 16, v8
	v_mov_b32_e32 v9, s13
	v_add_co_u32_e64 v0, s[0:1], s12, v0
	v_mul_f64 v[6:7], v[6:7], s[14:15]
	v_lshlrev_b64 v[4:5], 2, v[4:5]
	v_addc_co_u32_e64 v1, s[0:1], v9, v1, s[0:1]
	v_add_co_u32_e64 v4, s[0:1], v0, v4
	v_addc_co_u32_e64 v5, s[0:1], v1, v5, s[0:1]
	v_and_or_b32 v6, v7, s17, v6
	v_cmp_ne_u32_e64 s[0:1], 0, v6
	global_store_dword v[4:5], v8, off
	v_cndmask_b32_e64 v6, 0, 1, s[0:1]
	v_lshrrev_b32_e32 v8, 8, v7
	v_bfe_u32 v9, v7, 20, 11
	v_and_or_b32 v6, v8, s10, v6
	v_sub_u32_e32 v11, 0x3f1, v9
	v_or_b32_e32 v8, 0x1000, v6
	v_med3_i32 v11, v11, 0, 13
	v_lshrrev_b32_e32 v12, v11, v8
	v_lshlrev_b32_e32 v11, v11, v12
	v_mul_f16_sdwa v3, v51, v3 dst_sel:DWORD dst_unused:UNUSED_PAD src0_sel:WORD_1 src1_sel:DWORD
	v_cmp_ne_u32_e64 s[0:1], v11, v8
	v_fma_f16 v3, v51, v10, -v3
	v_cndmask_b32_e64 v8, 0, 1, s[0:1]
	v_add_u32_e32 v11, 0xfffffc10, v9
	v_cvt_f32_f16_e32 v3, v3
	v_or_b32_e32 v8, v12, v8
	v_lshl_or_b32 v9, v11, 12, v6
	v_cmp_gt_i32_e64 s[0:1], 1, v11
	v_cndmask_b32_e64 v8, v9, v8, s[0:1]
	v_and_b32_e32 v9, 7, v8
	v_cmp_lt_i32_e64 s[0:1], 5, v9
	v_cmp_eq_u32_e64 s[2:3], 3, v9
	v_lshrrev_b32_e32 v10, 2, v8
	v_cvt_f64_f32_e32 v[8:9], v3
	s_or_b64 s[0:1], s[2:3], s[0:1]
	v_addc_co_u32_e64 v3, s[0:1], 0, v10, s[0:1]
	v_mul_f64 v[8:9], v[8:9], s[14:15]
	v_cmp_gt_i32_e64 s[0:1], 31, v11
	v_cndmask_b32_e64 v3, v2, v3, s[0:1]
	v_cmp_ne_u32_e64 s[0:1], 0, v6
	v_cndmask_b32_e64 v6, 0, 1, s[0:1]
	v_lshl_or_b32 v6, v6, 9, v2
	v_cmp_eq_u32_e64 s[0:1], s11, v11
	v_cndmask_b32_e64 v3, v3, v6, s[0:1]
	v_lshrrev_b32_e32 v6, 16, v7
	v_and_or_b32 v3, v6, s16, v3
	v_and_or_b32 v6, v9, s17, v8
	v_cmp_ne_u32_e64 s[0:1], 0, v6
	v_cndmask_b32_e64 v6, 0, 1, s[0:1]
	v_lshrrev_b32_e32 v7, 8, v9
	v_bfe_u32 v8, v9, 20, 11
	v_and_or_b32 v6, v7, s10, v6
	v_sub_u32_e32 v10, 0x3f1, v8
	v_or_b32_e32 v7, 0x1000, v6
	v_med3_i32 v10, v10, 0, 13
	v_lshrrev_b32_e32 v11, v10, v7
	v_lshlrev_b32_e32 v10, v10, v11
	v_cmp_ne_u32_e64 s[0:1], v10, v7
	v_cndmask_b32_e64 v7, 0, 1, s[0:1]
	v_add_u32_e32 v8, 0xfffffc10, v8
	v_or_b32_e32 v7, v11, v7
	v_lshl_or_b32 v10, v8, 12, v6
	v_cmp_gt_i32_e64 s[0:1], 1, v8
	v_cndmask_b32_e64 v7, v10, v7, s[0:1]
	v_and_b32_e32 v10, 7, v7
	v_cmp_lt_i32_e64 s[0:1], 5, v10
	v_cmp_eq_u32_e64 s[2:3], 3, v10
	v_lshrrev_b32_e32 v7, 2, v7
	s_or_b64 s[0:1], s[2:3], s[0:1]
	v_addc_co_u32_e64 v7, s[0:1], 0, v7, s[0:1]
	v_cmp_gt_i32_e64 s[0:1], 31, v8
	v_cndmask_b32_e64 v10, v2, v7, s[0:1]
	v_cmp_ne_u32_e64 s[0:1], 0, v6
	ds_read2_b32 v[6:7], v39 offset0:28 offset1:42
	v_cndmask_b32_e64 v11, 0, 1, s[0:1]
	v_lshl_or_b32 v11, v11, 9, v2
	v_cmp_eq_u32_e64 s[0:1], s11, v8
	v_cndmask_b32_e64 v8, v10, v11, s[0:1]
	s_waitcnt lgkmcnt(0)
	v_lshrrev_b32_e32 v10, 16, v6
	v_mul_f16_sdwa v11, v50, v10 dst_sel:DWORD dst_unused:UNUSED_PAD src0_sel:WORD_1 src1_sel:DWORD
	v_fma_f16 v11, v50, v6, v11
	v_cvt_f32_f16_e32 v11, v11
	v_lshrrev_b32_e32 v9, 16, v9
	v_and_or_b32 v8, v9, s16, v8
	v_and_b32_e32 v3, 0xffff, v3
	v_lshl_or_b32 v12, v8, 16, v3
	v_cvt_f64_f32_e32 v[8:9], v11
	s_mul_i32 s0, s9, 56
	s_add_i32 s4, s4, s0
	v_mov_b32_e32 v11, s4
	v_mul_f64 v[8:9], v[8:9], s[14:15]
	v_add_co_u32_e64 v3, s[0:1], s5, v4
	v_addc_co_u32_e64 v4, s[0:1], v5, v11, s[0:1]
	global_store_dword v[3:4], v12, off
	v_mul_f16_sdwa v6, v50, v6 dst_sel:DWORD dst_unused:UNUSED_PAD src0_sel:WORD_1 src1_sel:DWORD
	v_fma_f16 v6, v50, v10, -v6
	v_and_or_b32 v5, v9, s17, v8
	v_cmp_ne_u32_e64 s[0:1], 0, v5
	v_cndmask_b32_e64 v5, 0, 1, s[0:1]
	v_lshrrev_b32_e32 v8, 8, v9
	v_bfe_u32 v11, v9, 20, 11
	v_and_or_b32 v8, v8, s10, v5
	v_sub_u32_e32 v12, 0x3f1, v11
	v_or_b32_e32 v5, 0x1000, v8
	v_med3_i32 v12, v12, 0, 13
	v_lshrrev_b32_e32 v13, v12, v5
	v_lshlrev_b32_e32 v12, v12, v13
	v_cmp_ne_u32_e64 s[0:1], v12, v5
	v_cvt_f32_f16_e32 v6, v6
	v_cndmask_b32_e64 v5, 0, 1, s[0:1]
	v_add_u32_e32 v11, 0xfffffc10, v11
	v_or_b32_e32 v5, v13, v5
	v_lshl_or_b32 v12, v11, 12, v8
	v_cmp_gt_i32_e64 s[0:1], 1, v11
	v_cndmask_b32_e64 v5, v12, v5, s[0:1]
	v_and_b32_e32 v12, 7, v5
	v_lshrrev_b32_e32 v10, 2, v5
	v_cvt_f64_f32_e32 v[5:6], v6
	v_cmp_lt_i32_e64 s[0:1], 5, v12
	v_cmp_eq_u32_e64 s[2:3], 3, v12
	s_or_b64 s[0:1], s[2:3], s[0:1]
	v_mul_f64 v[5:6], v[5:6], s[14:15]
	v_addc_co_u32_e64 v10, s[0:1], 0, v10, s[0:1]
	v_cmp_gt_i32_e64 s[0:1], 31, v11
	v_cndmask_b32_e64 v10, v2, v10, s[0:1]
	v_cmp_ne_u32_e64 s[0:1], 0, v8
	v_cndmask_b32_e64 v8, 0, 1, s[0:1]
	v_lshl_or_b32 v8, v8, 9, v2
	v_cmp_eq_u32_e64 s[0:1], s11, v11
	v_and_or_b32 v5, v6, s17, v5
	v_cndmask_b32_e64 v8, v10, v8, s[0:1]
	v_lshrrev_b32_e32 v9, 16, v9
	v_cmp_ne_u32_e64 s[0:1], 0, v5
	v_and_or_b32 v10, v9, s16, v8
	v_cndmask_b32_e64 v5, 0, 1, s[0:1]
	v_lshrrev_b32_e32 v8, 8, v6
	v_bfe_u32 v9, v6, 20, 11
	v_and_or_b32 v5, v8, s10, v5
	v_sub_u32_e32 v11, 0x3f1, v9
	v_or_b32_e32 v8, 0x1000, v5
	v_med3_i32 v11, v11, 0, 13
	v_lshrrev_b32_e32 v12, v11, v8
	v_lshlrev_b32_e32 v11, v11, v12
	v_cmp_ne_u32_e64 s[0:1], v11, v8
	v_cndmask_b32_e64 v8, 0, 1, s[0:1]
	v_add_u32_e32 v9, 0xfffffc10, v9
	v_or_b32_e32 v8, v12, v8
	v_lshl_or_b32 v11, v9, 12, v5
	v_cmp_gt_i32_e64 s[0:1], 1, v9
	v_cndmask_b32_e64 v8, v11, v8, s[0:1]
	v_and_b32_e32 v11, 7, v8
	v_cmp_lt_i32_e64 s[0:1], 5, v11
	v_cmp_eq_u32_e64 s[2:3], 3, v11
	v_lshrrev_b32_e32 v11, 16, v7
	v_lshrrev_b32_e32 v8, 2, v8
	s_or_b64 s[0:1], s[2:3], s[0:1]
	v_mul_f16_sdwa v12, v49, v11 dst_sel:DWORD dst_unused:UNUSED_PAD src0_sel:WORD_1 src1_sel:DWORD
	v_addc_co_u32_e64 v8, s[0:1], 0, v8, s[0:1]
	v_fma_f16 v12, v49, v7, v12
	v_cmp_gt_i32_e64 s[0:1], 31, v9
	v_cvt_f32_f16_e32 v12, v12
	v_cndmask_b32_e64 v8, v2, v8, s[0:1]
	v_cmp_ne_u32_e64 s[0:1], 0, v5
	v_cndmask_b32_e64 v5, 0, 1, s[0:1]
	v_lshl_or_b32 v5, v5, 9, v2
	v_cmp_eq_u32_e64 s[0:1], s11, v9
	v_cndmask_b32_e64 v5, v8, v5, s[0:1]
	v_cvt_f64_f32_e32 v[8:9], v12
	v_lshrrev_b32_e32 v6, 16, v6
	v_and_or_b32 v12, v6, s16, v5
	v_add_co_u32_e64 v3, s[0:1], s5, v3
	v_mul_f64 v[5:6], v[8:9], s[14:15]
	v_mov_b32_e32 v9, s4
	v_and_b32_e32 v10, 0xffff, v10
	v_addc_co_u32_e64 v4, s[0:1], v4, v9, s[0:1]
	v_lshl_or_b32 v8, v12, 16, v10
	global_store_dword v[3:4], v8, off
	v_mul_f16_sdwa v7, v49, v7 dst_sel:DWORD dst_unused:UNUSED_PAD src0_sel:WORD_1 src1_sel:DWORD
	v_and_or_b32 v5, v6, s17, v5
	v_cmp_ne_u32_e64 s[0:1], 0, v5
	v_cndmask_b32_e64 v5, 0, 1, s[0:1]
	v_lshrrev_b32_e32 v8, 8, v6
	v_bfe_u32 v9, v6, 20, 11
	v_and_or_b32 v5, v8, s10, v5
	v_sub_u32_e32 v10, 0x3f1, v9
	v_or_b32_e32 v8, 0x1000, v5
	v_med3_i32 v10, v10, 0, 13
	v_lshrrev_b32_e32 v12, v10, v8
	v_lshlrev_b32_e32 v10, v10, v12
	v_cmp_ne_u32_e64 s[0:1], v10, v8
	v_fma_f16 v7, v49, v11, -v7
	v_cndmask_b32_e64 v8, 0, 1, s[0:1]
	v_add_u32_e32 v9, 0xfffffc10, v9
	v_cvt_f32_f16_e32 v7, v7
	v_or_b32_e32 v8, v12, v8
	v_lshl_or_b32 v10, v9, 12, v5
	v_cmp_gt_i32_e64 s[0:1], 1, v9
	v_cndmask_b32_e64 v8, v10, v8, s[0:1]
	v_and_b32_e32 v10, 7, v8
	v_cmp_lt_i32_e64 s[0:1], 5, v10
	v_cmp_eq_u32_e64 s[2:3], 3, v10
	v_lshrrev_b32_e32 v10, 2, v8
	v_cvt_f64_f32_e32 v[7:8], v7
	s_or_b64 s[0:1], s[2:3], s[0:1]
	v_addc_co_u32_e64 v10, s[0:1], 0, v10, s[0:1]
	v_mul_f64 v[7:8], v[7:8], s[14:15]
	v_cmp_gt_i32_e64 s[0:1], 31, v9
	v_cndmask_b32_e64 v10, v2, v10, s[0:1]
	v_cmp_ne_u32_e64 s[0:1], 0, v5
	v_cndmask_b32_e64 v5, 0, 1, s[0:1]
	v_lshl_or_b32 v5, v5, 9, v2
	v_cmp_eq_u32_e64 s[0:1], s11, v9
	v_cndmask_b32_e64 v5, v10, v5, s[0:1]
	v_lshrrev_b32_e32 v6, 16, v6
	v_and_or_b32 v11, v6, s16, v5
	v_and_or_b32 v5, v8, s17, v7
	v_cmp_ne_u32_e64 s[0:1], 0, v5
	v_cndmask_b32_e64 v5, 0, 1, s[0:1]
	v_lshrrev_b32_e32 v6, 8, v8
	v_and_or_b32 v7, v6, s10, v5
	v_bfe_u32 v6, v8, 20, 11
	v_sub_u32_e32 v9, 0x3f1, v6
	v_or_b32_e32 v5, 0x1000, v7
	v_med3_i32 v9, v9, 0, 13
	v_lshrrev_b32_e32 v10, v9, v5
	v_lshlrev_b32_e32 v9, v9, v10
	v_cmp_ne_u32_e64 s[0:1], v9, v5
	v_cndmask_b32_e64 v5, 0, 1, s[0:1]
	v_add_u32_e32 v9, 0xfffffc10, v6
	v_or_b32_e32 v5, v10, v5
	v_lshl_or_b32 v6, v9, 12, v7
	v_cmp_gt_i32_e64 s[0:1], 1, v9
	v_cndmask_b32_e64 v5, v6, v5, s[0:1]
	v_and_b32_e32 v6, 7, v5
	v_cmp_lt_i32_e64 s[0:1], 5, v6
	v_cmp_eq_u32_e64 s[2:3], 3, v6
	v_lshrrev_b32_e32 v5, 2, v5
	s_or_b64 s[0:1], s[2:3], s[0:1]
	v_addc_co_u32_e64 v10, s[0:1], 0, v5, s[0:1]
	ds_read2_b32 v[5:6], v39 offset0:56 offset1:70
	v_cmp_gt_i32_e64 s[0:1], 31, v9
	v_cndmask_b32_e64 v10, v2, v10, s[0:1]
	v_cmp_ne_u32_e64 s[0:1], 0, v7
	v_cndmask_b32_e64 v7, 0, 1, s[0:1]
	s_waitcnt lgkmcnt(0)
	v_lshrrev_b32_e32 v12, 16, v5
	v_mul_f16_sdwa v13, v48, v12 dst_sel:DWORD dst_unused:UNUSED_PAD src0_sel:WORD_1 src1_sel:DWORD
	v_fma_f16 v13, v48, v5, v13
	v_cvt_f32_f16_e32 v13, v13
	v_lshl_or_b32 v7, v7, 9, v2
	v_cmp_eq_u32_e64 s[0:1], s11, v9
	v_cndmask_b32_e64 v7, v10, v7, s[0:1]
	v_cvt_f64_f32_e32 v[9:10], v13
	v_lshrrev_b32_e32 v8, 16, v8
	v_and_or_b32 v13, v8, s16, v7
	v_add_co_u32_e64 v3, s[0:1], s5, v3
	v_mul_f64 v[7:8], v[9:10], s[14:15]
	v_mov_b32_e32 v10, s4
	v_and_b32_e32 v11, 0xffff, v11
	v_addc_co_u32_e64 v4, s[0:1], v4, v10, s[0:1]
	v_lshl_or_b32 v9, v13, 16, v11
	global_store_dword v[3:4], v9, off
	v_mul_f16_sdwa v5, v48, v5 dst_sel:DWORD dst_unused:UNUSED_PAD src0_sel:WORD_1 src1_sel:DWORD
	v_and_or_b32 v7, v8, s17, v7
	v_cmp_ne_u32_e64 s[0:1], 0, v7
	v_cndmask_b32_e64 v7, 0, 1, s[0:1]
	v_lshrrev_b32_e32 v9, 8, v8
	v_bfe_u32 v10, v8, 20, 11
	v_and_or_b32 v7, v9, s10, v7
	v_sub_u32_e32 v11, 0x3f1, v10
	v_or_b32_e32 v9, 0x1000, v7
	v_med3_i32 v11, v11, 0, 13
	v_lshrrev_b32_e32 v13, v11, v9
	v_lshlrev_b32_e32 v11, v11, v13
	v_cmp_ne_u32_e64 s[0:1], v11, v9
	v_fma_f16 v5, v48, v12, -v5
	v_cndmask_b32_e64 v9, 0, 1, s[0:1]
	v_add_u32_e32 v11, 0xfffffc10, v10
	v_cvt_f32_f16_e32 v5, v5
	v_or_b32_e32 v9, v13, v9
	v_lshl_or_b32 v10, v11, 12, v7
	v_cmp_gt_i32_e64 s[0:1], 1, v11
	v_cndmask_b32_e64 v9, v10, v9, s[0:1]
	v_and_b32_e32 v10, 7, v9
	v_cmp_lt_i32_e64 s[0:1], 5, v10
	v_cmp_eq_u32_e64 s[2:3], 3, v10
	v_lshrrev_b32_e32 v12, 2, v9
	v_cvt_f64_f32_e32 v[9:10], v5
	s_or_b64 s[0:1], s[2:3], s[0:1]
	v_addc_co_u32_e64 v5, s[0:1], 0, v12, s[0:1]
	v_mul_f64 v[9:10], v[9:10], s[14:15]
	v_cmp_gt_i32_e64 s[0:1], 31, v11
	v_cndmask_b32_e64 v5, v2, v5, s[0:1]
	v_cmp_ne_u32_e64 s[0:1], 0, v7
	v_cndmask_b32_e64 v7, 0, 1, s[0:1]
	v_lshl_or_b32 v7, v7, 9, v2
	v_cmp_eq_u32_e64 s[0:1], s11, v11
	v_cndmask_b32_e64 v5, v5, v7, s[0:1]
	v_lshrrev_b32_e32 v7, 16, v8
	v_and_or_b32 v5, v7, s16, v5
	v_and_or_b32 v7, v10, s17, v9
	v_cmp_ne_u32_e64 s[0:1], 0, v7
	v_cndmask_b32_e64 v7, 0, 1, s[0:1]
	v_lshrrev_b32_e32 v8, 8, v10
	v_bfe_u32 v9, v10, 20, 11
	v_and_or_b32 v7, v8, s10, v7
	v_sub_u32_e32 v11, 0x3f1, v9
	v_or_b32_e32 v8, 0x1000, v7
	v_med3_i32 v11, v11, 0, 13
	v_lshrrev_b32_e32 v12, v11, v8
	v_lshlrev_b32_e32 v11, v11, v12
	v_cmp_ne_u32_e64 s[0:1], v11, v8
	v_cndmask_b32_e64 v8, 0, 1, s[0:1]
	v_add_u32_e32 v9, 0xfffffc10, v9
	v_or_b32_e32 v8, v12, v8
	v_lshl_or_b32 v11, v9, 12, v7
	v_cmp_gt_i32_e64 s[0:1], 1, v9
	v_cndmask_b32_e64 v8, v11, v8, s[0:1]
	v_and_b32_e32 v11, 7, v8
	v_cmp_lt_i32_e64 s[0:1], 5, v11
	v_cmp_eq_u32_e64 s[2:3], 3, v11
	v_lshrrev_b32_e32 v11, 16, v6
	v_lshrrev_b32_e32 v8, 2, v8
	s_or_b64 s[0:1], s[2:3], s[0:1]
	v_mul_f16_sdwa v12, v47, v11 dst_sel:DWORD dst_unused:UNUSED_PAD src0_sel:WORD_1 src1_sel:DWORD
	v_addc_co_u32_e64 v8, s[0:1], 0, v8, s[0:1]
	v_fma_f16 v12, v47, v6, v12
	v_cmp_gt_i32_e64 s[0:1], 31, v9
	v_cvt_f32_f16_e32 v12, v12
	v_cndmask_b32_e64 v8, v2, v8, s[0:1]
	v_cmp_ne_u32_e64 s[0:1], 0, v7
	v_cndmask_b32_e64 v7, 0, 1, s[0:1]
	v_lshl_or_b32 v7, v7, 9, v2
	v_cmp_eq_u32_e64 s[0:1], s11, v9
	v_cndmask_b32_e64 v9, v8, v7, s[0:1]
	v_cvt_f64_f32_e32 v[7:8], v12
	v_lshrrev_b32_e32 v10, 16, v10
	v_and_or_b32 v9, v10, s16, v9
	v_and_b32_e32 v5, 0xffff, v5
	v_mul_f64 v[7:8], v[7:8], s[14:15]
	v_lshl_or_b32 v5, v9, 16, v5
	v_mov_b32_e32 v9, s4
	v_add_co_u32_e64 v3, s[0:1], s5, v3
	v_addc_co_u32_e64 v4, s[0:1], v4, v9, s[0:1]
	global_store_dword v[3:4], v5, off
	v_and_or_b32 v5, v8, s17, v7
	v_cmp_ne_u32_e64 s[0:1], 0, v5
	v_cndmask_b32_e64 v5, 0, 1, s[0:1]
	v_lshrrev_b32_e32 v7, 8, v8
	v_bfe_u32 v9, v8, 20, 11
	v_and_or_b32 v7, v7, s10, v5
	v_sub_u32_e32 v10, 0x3f1, v9
	v_or_b32_e32 v5, 0x1000, v7
	v_med3_i32 v10, v10, 0, 13
	v_lshrrev_b32_e32 v12, v10, v5
	v_lshlrev_b32_e32 v10, v10, v12
	v_mul_f16_sdwa v6, v47, v6 dst_sel:DWORD dst_unused:UNUSED_PAD src0_sel:WORD_1 src1_sel:DWORD
	v_cmp_ne_u32_e64 s[0:1], v10, v5
	v_fma_f16 v6, v47, v11, -v6
	v_cndmask_b32_e64 v5, 0, 1, s[0:1]
	v_add_u32_e32 v9, 0xfffffc10, v9
	v_cvt_f32_f16_e32 v6, v6
	v_or_b32_e32 v5, v12, v5
	v_lshl_or_b32 v10, v9, 12, v7
	v_cmp_gt_i32_e64 s[0:1], 1, v9
	v_cndmask_b32_e64 v5, v10, v5, s[0:1]
	v_and_b32_e32 v10, 7, v5
	v_cmp_lt_i32_e64 s[0:1], 5, v10
	v_cmp_eq_u32_e64 s[2:3], 3, v10
	v_lshrrev_b32_e32 v10, 2, v5
	v_cvt_f64_f32_e32 v[5:6], v6
	s_or_b64 s[0:1], s[2:3], s[0:1]
	v_addc_co_u32_e64 v10, s[0:1], 0, v10, s[0:1]
	v_mul_f64 v[5:6], v[5:6], s[14:15]
	v_cmp_gt_i32_e64 s[0:1], 31, v9
	v_cndmask_b32_e64 v10, v2, v10, s[0:1]
	v_cmp_ne_u32_e64 s[0:1], 0, v7
	v_cndmask_b32_e64 v7, 0, 1, s[0:1]
	v_lshl_or_b32 v7, v7, 9, v2
	v_cmp_eq_u32_e64 s[0:1], s11, v9
	v_cndmask_b32_e64 v7, v10, v7, s[0:1]
	v_and_or_b32 v5, v6, s17, v5
	v_lshrrev_b32_e32 v8, 16, v8
	v_cmp_ne_u32_e64 s[0:1], 0, v5
	v_and_or_b32 v11, v8, s16, v7
	v_cndmask_b32_e64 v5, 0, 1, s[0:1]
	v_lshrrev_b32_e32 v7, 8, v6
	v_bfe_u32 v8, v6, 20, 11
	v_and_or_b32 v5, v7, s10, v5
	v_sub_u32_e32 v9, 0x3f1, v8
	v_or_b32_e32 v7, 0x1000, v5
	v_med3_i32 v9, v9, 0, 13
	v_lshrrev_b32_e32 v10, v9, v7
	v_lshlrev_b32_e32 v9, v9, v10
	v_cmp_ne_u32_e64 s[0:1], v9, v7
	v_cndmask_b32_e64 v7, 0, 1, s[0:1]
	v_add_u32_e32 v9, 0xfffffc10, v8
	v_or_b32_e32 v7, v10, v7
	v_lshl_or_b32 v8, v9, 12, v5
	v_cmp_gt_i32_e64 s[0:1], 1, v9
	v_cndmask_b32_e64 v7, v8, v7, s[0:1]
	v_and_b32_e32 v8, 7, v7
	v_cmp_lt_i32_e64 s[0:1], 5, v8
	v_cmp_eq_u32_e64 s[2:3], 3, v8
	v_lshrrev_b32_e32 v7, 2, v7
	s_or_b64 s[0:1], s[2:3], s[0:1]
	v_addc_co_u32_e64 v10, s[0:1], 0, v7, s[0:1]
	ds_read2_b32 v[7:8], v39 offset0:84 offset1:98
	v_cmp_gt_i32_e64 s[0:1], 31, v9
	v_cndmask_b32_e64 v10, v2, v10, s[0:1]
	v_cmp_ne_u32_e64 s[0:1], 0, v5
	v_cndmask_b32_e64 v5, 0, 1, s[0:1]
	s_waitcnt lgkmcnt(0)
	v_lshrrev_b32_e32 v12, 16, v7
	v_mul_f16_sdwa v13, v46, v12 dst_sel:DWORD dst_unused:UNUSED_PAD src0_sel:WORD_1 src1_sel:DWORD
	v_fma_f16 v13, v46, v7, v13
	v_cvt_f32_f16_e32 v13, v13
	v_lshl_or_b32 v5, v5, 9, v2
	v_cmp_eq_u32_e64 s[0:1], s11, v9
	v_cndmask_b32_e64 v5, v10, v5, s[0:1]
	v_cvt_f64_f32_e32 v[9:10], v13
	v_lshrrev_b32_e32 v6, 16, v6
	v_and_or_b32 v13, v6, s16, v5
	v_add_co_u32_e64 v3, s[0:1], s5, v3
	v_mul_f64 v[5:6], v[9:10], s[14:15]
	v_mov_b32_e32 v10, s4
	v_and_b32_e32 v11, 0xffff, v11
	v_addc_co_u32_e64 v4, s[0:1], v4, v10, s[0:1]
	v_lshl_or_b32 v9, v13, 16, v11
	global_store_dword v[3:4], v9, off
	v_mul_f16_sdwa v7, v46, v7 dst_sel:DWORD dst_unused:UNUSED_PAD src0_sel:WORD_1 src1_sel:DWORD
	v_and_or_b32 v5, v6, s17, v5
	v_cmp_ne_u32_e64 s[0:1], 0, v5
	v_cndmask_b32_e64 v5, 0, 1, s[0:1]
	v_lshrrev_b32_e32 v9, 8, v6
	v_bfe_u32 v10, v6, 20, 11
	v_and_or_b32 v5, v9, s10, v5
	v_sub_u32_e32 v11, 0x3f1, v10
	v_or_b32_e32 v9, 0x1000, v5
	v_med3_i32 v11, v11, 0, 13
	v_lshrrev_b32_e32 v13, v11, v9
	v_lshlrev_b32_e32 v11, v11, v13
	v_cmp_ne_u32_e64 s[0:1], v11, v9
	v_fma_f16 v7, v46, v12, -v7
	v_cndmask_b32_e64 v9, 0, 1, s[0:1]
	v_add_u32_e32 v11, 0xfffffc10, v10
	v_cvt_f32_f16_e32 v7, v7
	v_or_b32_e32 v9, v13, v9
	v_lshl_or_b32 v10, v11, 12, v5
	v_cmp_gt_i32_e64 s[0:1], 1, v11
	v_cndmask_b32_e64 v9, v10, v9, s[0:1]
	v_and_b32_e32 v10, 7, v9
	v_cmp_lt_i32_e64 s[0:1], 5, v10
	v_cmp_eq_u32_e64 s[2:3], 3, v10
	v_lshrrev_b32_e32 v12, 2, v9
	v_cvt_f64_f32_e32 v[9:10], v7
	s_or_b64 s[0:1], s[2:3], s[0:1]
	v_addc_co_u32_e64 v7, s[0:1], 0, v12, s[0:1]
	v_mul_f64 v[9:10], v[9:10], s[14:15]
	v_cmp_gt_i32_e64 s[0:1], 31, v11
	v_cndmask_b32_e64 v7, v2, v7, s[0:1]
	v_cmp_ne_u32_e64 s[0:1], 0, v5
	v_cndmask_b32_e64 v5, 0, 1, s[0:1]
	v_lshl_or_b32 v5, v5, 9, v2
	v_cmp_eq_u32_e64 s[0:1], s11, v11
	v_cndmask_b32_e64 v5, v7, v5, s[0:1]
	v_lshrrev_b32_e32 v6, 16, v6
	v_and_or_b32 v7, v6, s16, v5
	v_and_or_b32 v5, v10, s17, v9
	v_cmp_ne_u32_e64 s[0:1], 0, v5
	v_cndmask_b32_e64 v5, 0, 1, s[0:1]
	v_lshrrev_b32_e32 v6, 8, v10
	v_bfe_u32 v9, v10, 20, 11
	v_and_or_b32 v5, v6, s10, v5
	v_sub_u32_e32 v11, 0x3f1, v9
	v_or_b32_e32 v6, 0x1000, v5
	v_med3_i32 v11, v11, 0, 13
	v_lshrrev_b32_e32 v12, v11, v6
	v_lshlrev_b32_e32 v11, v11, v12
	v_cmp_ne_u32_e64 s[0:1], v11, v6
	v_cndmask_b32_e64 v6, 0, 1, s[0:1]
	v_add_u32_e32 v9, 0xfffffc10, v9
	v_or_b32_e32 v6, v12, v6
	v_lshl_or_b32 v11, v9, 12, v5
	v_cmp_gt_i32_e64 s[0:1], 1, v9
	v_cndmask_b32_e64 v6, v11, v6, s[0:1]
	v_and_b32_e32 v11, 7, v6
	v_cmp_lt_i32_e64 s[0:1], 5, v11
	v_cmp_eq_u32_e64 s[2:3], 3, v11
	v_lshrrev_b32_e32 v11, 16, v8
	v_lshrrev_b32_e32 v6, 2, v6
	s_or_b64 s[0:1], s[2:3], s[0:1]
	v_mul_f16_sdwa v12, v45, v11 dst_sel:DWORD dst_unused:UNUSED_PAD src0_sel:WORD_1 src1_sel:DWORD
	v_addc_co_u32_e64 v6, s[0:1], 0, v6, s[0:1]
	v_fma_f16 v12, v45, v8, v12
	v_cmp_gt_i32_e64 s[0:1], 31, v9
	v_cvt_f32_f16_e32 v12, v12
	v_cndmask_b32_e64 v6, v2, v6, s[0:1]
	v_cmp_ne_u32_e64 s[0:1], 0, v5
	v_cndmask_b32_e64 v5, 0, 1, s[0:1]
	v_lshl_or_b32 v5, v5, 9, v2
	v_cmp_eq_u32_e64 s[0:1], s11, v9
	v_cndmask_b32_e64 v9, v6, v5, s[0:1]
	v_cvt_f64_f32_e32 v[5:6], v12
	v_lshrrev_b32_e32 v10, 16, v10
	v_and_or_b32 v9, v10, s16, v9
	v_and_b32_e32 v7, 0xffff, v7
	v_mul_f64 v[5:6], v[5:6], s[14:15]
	v_lshl_or_b32 v7, v9, 16, v7
	v_mov_b32_e32 v9, s4
	v_add_co_u32_e64 v3, s[0:1], s5, v3
	v_addc_co_u32_e64 v4, s[0:1], v4, v9, s[0:1]
	global_store_dword v[3:4], v7, off
	v_and_or_b32 v5, v6, s17, v5
	v_cmp_ne_u32_e64 s[0:1], 0, v5
	v_cndmask_b32_e64 v5, 0, 1, s[0:1]
	v_lshrrev_b32_e32 v7, 8, v6
	v_bfe_u32 v9, v6, 20, 11
	v_and_or_b32 v5, v7, s10, v5
	v_sub_u32_e32 v10, 0x3f1, v9
	v_or_b32_e32 v7, 0x1000, v5
	v_med3_i32 v10, v10, 0, 13
	v_lshrrev_b32_e32 v12, v10, v7
	v_lshlrev_b32_e32 v10, v10, v12
	v_mul_f16_sdwa v8, v45, v8 dst_sel:DWORD dst_unused:UNUSED_PAD src0_sel:WORD_1 src1_sel:DWORD
	v_cmp_ne_u32_e64 s[0:1], v10, v7
	v_fma_f16 v8, v45, v11, -v8
	v_cndmask_b32_e64 v7, 0, 1, s[0:1]
	v_add_u32_e32 v9, 0xfffffc10, v9
	v_cvt_f32_f16_e32 v8, v8
	v_or_b32_e32 v7, v12, v7
	v_lshl_or_b32 v10, v9, 12, v5
	v_cmp_gt_i32_e64 s[0:1], 1, v9
	v_cndmask_b32_e64 v7, v10, v7, s[0:1]
	v_and_b32_e32 v10, 7, v7
	v_cmp_lt_i32_e64 s[0:1], 5, v10
	v_cmp_eq_u32_e64 s[2:3], 3, v10
	v_lshrrev_b32_e32 v10, 2, v7
	v_cvt_f64_f32_e32 v[7:8], v8
	s_or_b64 s[0:1], s[2:3], s[0:1]
	v_addc_co_u32_e64 v10, s[0:1], 0, v10, s[0:1]
	v_mul_f64 v[7:8], v[7:8], s[14:15]
	v_cmp_gt_i32_e64 s[0:1], 31, v9
	v_cndmask_b32_e64 v10, v2, v10, s[0:1]
	v_cmp_ne_u32_e64 s[0:1], 0, v5
	v_cndmask_b32_e64 v5, 0, 1, s[0:1]
	v_lshl_or_b32 v5, v5, 9, v2
	v_cmp_eq_u32_e64 s[0:1], s11, v9
	v_cndmask_b32_e64 v5, v10, v5, s[0:1]
	v_lshrrev_b32_e32 v6, 16, v6
	v_and_or_b32 v11, v6, s16, v5
	v_and_or_b32 v5, v8, s17, v7
	v_cmp_ne_u32_e64 s[0:1], 0, v5
	v_cndmask_b32_e64 v5, 0, 1, s[0:1]
	v_lshrrev_b32_e32 v6, 8, v8
	v_and_or_b32 v7, v6, s10, v5
	v_bfe_u32 v6, v8, 20, 11
	v_sub_u32_e32 v9, 0x3f1, v6
	v_or_b32_e32 v5, 0x1000, v7
	v_med3_i32 v9, v9, 0, 13
	v_lshrrev_b32_e32 v10, v9, v5
	v_lshlrev_b32_e32 v9, v9, v10
	v_cmp_ne_u32_e64 s[0:1], v9, v5
	v_cndmask_b32_e64 v5, 0, 1, s[0:1]
	v_add_u32_e32 v9, 0xfffffc10, v6
	v_or_b32_e32 v5, v10, v5
	v_lshl_or_b32 v6, v9, 12, v7
	v_cmp_gt_i32_e64 s[0:1], 1, v9
	v_cndmask_b32_e64 v5, v6, v5, s[0:1]
	v_and_b32_e32 v6, 7, v5
	v_cmp_lt_i32_e64 s[0:1], 5, v6
	v_cmp_eq_u32_e64 s[2:3], 3, v6
	v_lshrrev_b32_e32 v5, 2, v5
	s_or_b64 s[0:1], s[2:3], s[0:1]
	v_addc_co_u32_e64 v10, s[0:1], 0, v5, s[0:1]
	ds_read2_b32 v[5:6], v39 offset0:112 offset1:126
	v_cmp_gt_i32_e64 s[0:1], 31, v9
	v_cndmask_b32_e64 v10, v2, v10, s[0:1]
	v_cmp_ne_u32_e64 s[0:1], 0, v7
	v_cndmask_b32_e64 v7, 0, 1, s[0:1]
	s_waitcnt lgkmcnt(0)
	v_lshrrev_b32_e32 v12, 16, v5
	v_mul_f16_sdwa v13, v44, v12 dst_sel:DWORD dst_unused:UNUSED_PAD src0_sel:WORD_1 src1_sel:DWORD
	v_fma_f16 v13, v44, v5, v13
	v_cvt_f32_f16_e32 v13, v13
	v_lshl_or_b32 v7, v7, 9, v2
	v_cmp_eq_u32_e64 s[0:1], s11, v9
	v_cndmask_b32_e64 v7, v10, v7, s[0:1]
	v_cvt_f64_f32_e32 v[9:10], v13
	v_lshrrev_b32_e32 v8, 16, v8
	v_and_or_b32 v13, v8, s16, v7
	v_add_co_u32_e64 v3, s[0:1], s5, v3
	v_mul_f64 v[7:8], v[9:10], s[14:15]
	v_mov_b32_e32 v10, s4
	v_and_b32_e32 v11, 0xffff, v11
	v_addc_co_u32_e64 v4, s[0:1], v4, v10, s[0:1]
	v_lshl_or_b32 v9, v13, 16, v11
	global_store_dword v[3:4], v9, off
	v_mul_f16_sdwa v5, v44, v5 dst_sel:DWORD dst_unused:UNUSED_PAD src0_sel:WORD_1 src1_sel:DWORD
	v_and_or_b32 v7, v8, s17, v7
	v_cmp_ne_u32_e64 s[0:1], 0, v7
	v_cndmask_b32_e64 v7, 0, 1, s[0:1]
	v_lshrrev_b32_e32 v9, 8, v8
	v_bfe_u32 v10, v8, 20, 11
	v_and_or_b32 v7, v9, s10, v7
	v_sub_u32_e32 v11, 0x3f1, v10
	v_or_b32_e32 v9, 0x1000, v7
	v_med3_i32 v11, v11, 0, 13
	v_lshrrev_b32_e32 v13, v11, v9
	v_lshlrev_b32_e32 v11, v11, v13
	v_cmp_ne_u32_e64 s[0:1], v11, v9
	v_fma_f16 v5, v44, v12, -v5
	v_cndmask_b32_e64 v9, 0, 1, s[0:1]
	v_add_u32_e32 v11, 0xfffffc10, v10
	v_cvt_f32_f16_e32 v5, v5
	v_or_b32_e32 v9, v13, v9
	v_lshl_or_b32 v10, v11, 12, v7
	v_cmp_gt_i32_e64 s[0:1], 1, v11
	v_cndmask_b32_e64 v9, v10, v9, s[0:1]
	v_and_b32_e32 v10, 7, v9
	v_cmp_lt_i32_e64 s[0:1], 5, v10
	v_cmp_eq_u32_e64 s[2:3], 3, v10
	v_lshrrev_b32_e32 v12, 2, v9
	v_cvt_f64_f32_e32 v[9:10], v5
	s_or_b64 s[0:1], s[2:3], s[0:1]
	v_addc_co_u32_e64 v5, s[0:1], 0, v12, s[0:1]
	v_mul_f64 v[9:10], v[9:10], s[14:15]
	v_cmp_gt_i32_e64 s[0:1], 31, v11
	v_cndmask_b32_e64 v5, v2, v5, s[0:1]
	v_cmp_ne_u32_e64 s[0:1], 0, v7
	v_cndmask_b32_e64 v7, 0, 1, s[0:1]
	v_lshl_or_b32 v7, v7, 9, v2
	v_cmp_eq_u32_e64 s[0:1], s11, v11
	v_cndmask_b32_e64 v5, v5, v7, s[0:1]
	v_lshrrev_b32_e32 v7, 16, v8
	v_and_or_b32 v11, v7, s16, v5
	v_and_or_b32 v5, v10, s17, v9
	v_cmp_ne_u32_e64 s[0:1], 0, v5
	v_cndmask_b32_e64 v5, 0, 1, s[0:1]
	v_lshrrev_b32_e32 v7, 8, v10
	v_bfe_u32 v8, v10, 20, 11
	v_and_or_b32 v5, v7, s10, v5
	v_sub_u32_e32 v9, 0x3f1, v8
	v_or_b32_e32 v7, 0x1000, v5
	v_med3_i32 v9, v9, 0, 13
	v_lshrrev_b32_e32 v12, v9, v7
	v_lshlrev_b32_e32 v9, v9, v12
	v_cmp_ne_u32_e64 s[0:1], v9, v7
	v_cndmask_b32_e64 v7, 0, 1, s[0:1]
	v_add_u32_e32 v9, 0xfffffc10, v8
	v_or_b32_e32 v7, v12, v7
	v_lshl_or_b32 v8, v9, 12, v5
	v_cmp_gt_i32_e64 s[0:1], 1, v9
	v_cndmask_b32_e64 v7, v8, v7, s[0:1]
	v_and_b32_e32 v8, 7, v7
	v_cmp_lt_i32_e64 s[0:1], 5, v8
	v_cmp_eq_u32_e64 s[2:3], 3, v8
	v_lshrrev_b32_e32 v7, 2, v7
	s_or_b64 s[0:1], s[2:3], s[0:1]
	v_addc_co_u32_e64 v7, s[0:1], 0, v7, s[0:1]
	v_cmp_gt_i32_e64 s[0:1], 31, v9
	v_cndmask_b32_e64 v12, v2, v7, s[0:1]
	v_cmp_ne_u32_e64 s[0:1], 0, v5
	v_cndmask_b32_e64 v5, 0, 1, s[0:1]
	v_mad_u64_u32 v[7:8], s[0:1], s8, v42, 0
	v_lshl_or_b32 v5, v5, 9, v2
	v_cmp_eq_u32_e64 s[0:1], s11, v9
	v_lshrrev_b32_e32 v13, 16, v6
	v_cndmask_b32_e64 v12, v12, v5, s[0:1]
	v_mov_b32_e32 v5, v8
	v_mul_f16_sdwa v8, v43, v13 dst_sel:DWORD dst_unused:UNUSED_PAD src0_sel:WORD_1 src1_sel:DWORD
	v_fma_f16 v8, v43, v6, v8
	v_cvt_f32_f16_e32 v14, v8
	v_mad_u64_u32 v[8:9], s[0:1], s9, v42, v[5:6]
	v_lshrrev_b32_e32 v5, 16, v10
	v_cvt_f64_f32_e32 v[9:10], v14
	v_lshlrev_b64 v[7:8], 2, v[7:8]
	v_and_or_b32 v5, v5, s16, v12
	v_and_b32_e32 v11, 0xffff, v11
	v_mul_f64 v[9:10], v[9:10], s[14:15]
	v_add_co_u32_e64 v7, s[0:1], v0, v7
	v_lshl_or_b32 v5, v5, 16, v11
	v_addc_co_u32_e64 v8, s[0:1], v1, v8, s[0:1]
	global_store_dword v[7:8], v5, off
	v_mul_f16_sdwa v6, v43, v6 dst_sel:DWORD dst_unused:UNUSED_PAD src0_sel:WORD_1 src1_sel:DWORD
	v_and_or_b32 v5, v10, s17, v9
	v_cmp_ne_u32_e64 s[0:1], 0, v5
	v_cndmask_b32_e64 v5, 0, 1, s[0:1]
	v_lshrrev_b32_e32 v7, 8, v10
	v_bfe_u32 v8, v10, 20, 11
	v_and_or_b32 v7, v7, s10, v5
	v_sub_u32_e32 v9, 0x3f1, v8
	v_or_b32_e32 v5, 0x1000, v7
	v_med3_i32 v9, v9, 0, 13
	v_lshrrev_b32_e32 v11, v9, v5
	v_lshlrev_b32_e32 v9, v9, v11
	v_cmp_ne_u32_e64 s[0:1], v9, v5
	v_fma_f16 v6, v43, v13, -v6
	v_cndmask_b32_e64 v5, 0, 1, s[0:1]
	v_add_u32_e32 v8, 0xfffffc10, v8
	v_cvt_f32_f16_e32 v6, v6
	v_or_b32_e32 v5, v11, v5
	v_lshl_or_b32 v9, v8, 12, v7
	v_cmp_gt_i32_e64 s[0:1], 1, v8
	v_cndmask_b32_e64 v5, v9, v5, s[0:1]
	v_and_b32_e32 v9, 7, v5
	v_cmp_lt_i32_e64 s[0:1], 5, v9
	v_cmp_eq_u32_e64 s[2:3], 3, v9
	v_lshrrev_b32_e32 v9, 2, v5
	v_cvt_f64_f32_e32 v[5:6], v6
	s_or_b64 s[0:1], s[2:3], s[0:1]
	v_addc_co_u32_e64 v9, s[0:1], 0, v9, s[0:1]
	v_mul_f64 v[5:6], v[5:6], s[14:15]
	v_cmp_gt_i32_e64 s[0:1], 31, v8
	v_cndmask_b32_e64 v9, v2, v9, s[0:1]
	v_cmp_ne_u32_e64 s[0:1], 0, v7
	v_cndmask_b32_e64 v7, 0, 1, s[0:1]
	v_lshl_or_b32 v7, v7, 9, v2
	v_cmp_eq_u32_e64 s[0:1], s11, v8
	v_cndmask_b32_e64 v7, v9, v7, s[0:1]
	v_and_or_b32 v5, v6, s17, v5
	v_lshrrev_b32_e32 v8, 16, v10
	v_cmp_ne_u32_e64 s[0:1], 0, v5
	v_and_or_b32 v11, v8, s16, v7
	v_cndmask_b32_e64 v5, 0, 1, s[0:1]
	v_lshrrev_b32_e32 v7, 8, v6
	v_bfe_u32 v8, v6, 20, 11
	v_and_or_b32 v5, v7, s10, v5
	v_sub_u32_e32 v9, 0x3f1, v8
	v_or_b32_e32 v7, 0x1000, v5
	v_med3_i32 v9, v9, 0, 13
	v_lshrrev_b32_e32 v10, v9, v7
	v_lshlrev_b32_e32 v9, v9, v10
	v_cmp_ne_u32_e64 s[0:1], v9, v7
	v_cndmask_b32_e64 v7, 0, 1, s[0:1]
	v_add_u32_e32 v9, 0xfffffc10, v8
	v_or_b32_e32 v7, v10, v7
	v_lshl_or_b32 v8, v9, 12, v5
	v_cmp_gt_i32_e64 s[0:1], 1, v9
	v_cndmask_b32_e64 v7, v8, v7, s[0:1]
	v_and_b32_e32 v8, 7, v7
	v_cmp_lt_i32_e64 s[0:1], 5, v8
	v_cmp_eq_u32_e64 s[2:3], 3, v8
	v_lshrrev_b32_e32 v7, 2, v7
	s_or_b64 s[0:1], s[2:3], s[0:1]
	v_addc_co_u32_e64 v10, s[0:1], 0, v7, s[0:1]
	ds_read2_b32 v[7:8], v39 offset0:140 offset1:154
	v_cmp_gt_i32_e64 s[0:1], 31, v9
	v_cndmask_b32_e64 v10, v2, v10, s[0:1]
	v_cmp_ne_u32_e64 s[0:1], 0, v5
	v_cndmask_b32_e64 v5, 0, 1, s[0:1]
	s_waitcnt lgkmcnt(0)
	v_lshrrev_b32_e32 v12, 16, v7
	v_mul_f16_sdwa v13, v41, v12 dst_sel:DWORD dst_unused:UNUSED_PAD src0_sel:WORD_1 src1_sel:DWORD
	v_fma_f16 v13, v41, v7, v13
	v_cvt_f32_f16_e32 v13, v13
	v_lshl_or_b32 v5, v5, 9, v2
	v_cmp_eq_u32_e64 s[0:1], s11, v9
	v_cndmask_b32_e64 v5, v10, v5, s[0:1]
	v_cvt_f64_f32_e32 v[9:10], v13
	v_lshrrev_b32_e32 v6, 16, v6
	v_and_or_b32 v13, v6, s16, v5
	v_mov_b32_e32 v14, 0x70
	v_mul_f64 v[5:6], v[9:10], s[14:15]
	v_mad_u64_u32 v[3:4], s[0:1], s8, v14, v[3:4]
	v_and_b32_e32 v9, 0xffff, v11
	s_mul_i32 s0, s9, 0x70
	v_lshl_or_b32 v9, v13, 16, v9
	v_add_u32_e32 v4, s0, v4
	global_store_dword v[3:4], v9, off
	v_and_or_b32 v5, v6, s17, v5
	v_cmp_ne_u32_e64 s[0:1], 0, v5
	v_cndmask_b32_e64 v5, 0, 1, s[0:1]
	v_lshrrev_b32_e32 v9, 8, v6
	v_bfe_u32 v10, v6, 20, 11
	v_and_or_b32 v5, v9, s10, v5
	v_sub_u32_e32 v11, 0x3f1, v10
	v_or_b32_e32 v9, 0x1000, v5
	v_med3_i32 v11, v11, 0, 13
	v_lshrrev_b32_e32 v13, v11, v9
	v_lshlrev_b32_e32 v11, v11, v13
	v_mul_f16_sdwa v7, v41, v7 dst_sel:DWORD dst_unused:UNUSED_PAD src0_sel:WORD_1 src1_sel:DWORD
	v_cmp_ne_u32_e64 s[0:1], v11, v9
	v_fma_f16 v7, v41, v12, -v7
	v_cndmask_b32_e64 v9, 0, 1, s[0:1]
	v_add_u32_e32 v11, 0xfffffc10, v10
	v_cvt_f32_f16_e32 v7, v7
	v_or_b32_e32 v9, v13, v9
	v_lshl_or_b32 v10, v11, 12, v5
	v_cmp_gt_i32_e64 s[0:1], 1, v11
	v_cndmask_b32_e64 v9, v10, v9, s[0:1]
	v_and_b32_e32 v10, 7, v9
	v_cmp_lt_i32_e64 s[0:1], 5, v10
	v_cmp_eq_u32_e64 s[2:3], 3, v10
	v_lshrrev_b32_e32 v12, 2, v9
	v_cvt_f64_f32_e32 v[9:10], v7
	s_or_b64 s[0:1], s[2:3], s[0:1]
	v_addc_co_u32_e64 v7, s[0:1], 0, v12, s[0:1]
	v_mul_f64 v[9:10], v[9:10], s[14:15]
	v_cmp_gt_i32_e64 s[0:1], 31, v11
	v_cndmask_b32_e64 v7, v2, v7, s[0:1]
	v_cmp_ne_u32_e64 s[0:1], 0, v5
	v_cndmask_b32_e64 v5, 0, 1, s[0:1]
	v_lshl_or_b32 v5, v5, 9, v2
	v_cmp_eq_u32_e64 s[0:1], s11, v11
	v_cndmask_b32_e64 v5, v7, v5, s[0:1]
	v_lshrrev_b32_e32 v6, 16, v6
	v_and_or_b32 v7, v6, s16, v5
	v_and_or_b32 v5, v10, s17, v9
	v_cmp_ne_u32_e64 s[0:1], 0, v5
	v_cndmask_b32_e64 v5, 0, 1, s[0:1]
	v_lshrrev_b32_e32 v6, 8, v10
	v_bfe_u32 v9, v10, 20, 11
	v_and_or_b32 v5, v6, s10, v5
	v_sub_u32_e32 v11, 0x3f1, v9
	v_or_b32_e32 v6, 0x1000, v5
	v_med3_i32 v11, v11, 0, 13
	v_lshrrev_b32_e32 v12, v11, v6
	v_lshlrev_b32_e32 v11, v11, v12
	v_cmp_ne_u32_e64 s[0:1], v11, v6
	v_cndmask_b32_e64 v6, 0, 1, s[0:1]
	v_add_u32_e32 v9, 0xfffffc10, v9
	v_or_b32_e32 v6, v12, v6
	v_lshl_or_b32 v11, v9, 12, v5
	v_cmp_gt_i32_e64 s[0:1], 1, v9
	v_cndmask_b32_e64 v6, v11, v6, s[0:1]
	v_and_b32_e32 v11, 7, v6
	v_cmp_lt_i32_e64 s[0:1], 5, v11
	v_cmp_eq_u32_e64 s[2:3], 3, v11
	v_lshrrev_b32_e32 v11, 16, v8
	v_lshrrev_b32_e32 v6, 2, v6
	s_or_b64 s[0:1], s[2:3], s[0:1]
	v_mul_f16_sdwa v12, v40, v11 dst_sel:DWORD dst_unused:UNUSED_PAD src0_sel:WORD_1 src1_sel:DWORD
	v_addc_co_u32_e64 v6, s[0:1], 0, v6, s[0:1]
	v_fma_f16 v12, v40, v8, v12
	v_cmp_gt_i32_e64 s[0:1], 31, v9
	v_cvt_f32_f16_e32 v12, v12
	v_cndmask_b32_e64 v6, v2, v6, s[0:1]
	v_cmp_ne_u32_e64 s[0:1], 0, v5
	v_cndmask_b32_e64 v5, 0, 1, s[0:1]
	v_lshl_or_b32 v5, v5, 9, v2
	v_cmp_eq_u32_e64 s[0:1], s11, v9
	v_cndmask_b32_e64 v9, v6, v5, s[0:1]
	v_cvt_f64_f32_e32 v[5:6], v12
	v_lshrrev_b32_e32 v10, 16, v10
	v_and_or_b32 v9, v10, s16, v9
	v_and_b32_e32 v7, 0xffff, v7
	v_mul_f64 v[5:6], v[5:6], s[14:15]
	v_lshl_or_b32 v7, v9, 16, v7
	v_mov_b32_e32 v9, s4
	v_add_co_u32_e64 v3, s[0:1], s5, v3
	v_addc_co_u32_e64 v4, s[0:1], v4, v9, s[0:1]
	global_store_dword v[3:4], v7, off
	v_and_or_b32 v5, v6, s17, v5
	v_cmp_ne_u32_e64 s[0:1], 0, v5
	v_cndmask_b32_e64 v5, 0, 1, s[0:1]
	v_lshrrev_b32_e32 v7, 8, v6
	v_bfe_u32 v9, v6, 20, 11
	v_and_or_b32 v5, v7, s10, v5
	v_sub_u32_e32 v10, 0x3f1, v9
	v_or_b32_e32 v7, 0x1000, v5
	v_med3_i32 v10, v10, 0, 13
	v_lshrrev_b32_e32 v12, v10, v7
	v_lshlrev_b32_e32 v10, v10, v12
	v_mul_f16_sdwa v8, v40, v8 dst_sel:DWORD dst_unused:UNUSED_PAD src0_sel:WORD_1 src1_sel:DWORD
	v_cmp_ne_u32_e64 s[0:1], v10, v7
	v_fma_f16 v8, v40, v11, -v8
	v_cndmask_b32_e64 v7, 0, 1, s[0:1]
	v_add_u32_e32 v9, 0xfffffc10, v9
	v_cvt_f32_f16_e32 v8, v8
	v_or_b32_e32 v7, v12, v7
	v_lshl_or_b32 v10, v9, 12, v5
	v_cmp_gt_i32_e64 s[0:1], 1, v9
	v_cndmask_b32_e64 v7, v10, v7, s[0:1]
	v_and_b32_e32 v10, 7, v7
	v_cmp_lt_i32_e64 s[0:1], 5, v10
	v_cmp_eq_u32_e64 s[2:3], 3, v10
	v_lshrrev_b32_e32 v10, 2, v7
	v_cvt_f64_f32_e32 v[7:8], v8
	s_or_b64 s[0:1], s[2:3], s[0:1]
	v_addc_co_u32_e64 v10, s[0:1], 0, v10, s[0:1]
	v_mul_f64 v[7:8], v[7:8], s[14:15]
	v_cmp_gt_i32_e64 s[0:1], 31, v9
	v_cndmask_b32_e64 v10, v2, v10, s[0:1]
	v_cmp_ne_u32_e64 s[0:1], 0, v5
	v_cndmask_b32_e64 v5, 0, 1, s[0:1]
	v_lshl_or_b32 v5, v5, 9, v2
	v_cmp_eq_u32_e64 s[0:1], s11, v9
	v_cndmask_b32_e64 v5, v10, v5, s[0:1]
	v_lshrrev_b32_e32 v6, 16, v6
	v_and_or_b32 v9, v6, s16, v5
	v_and_or_b32 v5, v8, s17, v7
	v_cmp_ne_u32_e64 s[0:1], 0, v5
	v_cndmask_b32_e64 v5, 0, 1, s[0:1]
	v_lshrrev_b32_e32 v6, 8, v8
	v_bfe_u32 v7, v8, 20, 11
	v_and_or_b32 v5, v6, s10, v5
	v_sub_u32_e32 v10, 0x3f1, v7
	v_or_b32_e32 v6, 0x1000, v5
	v_med3_i32 v10, v10, 0, 13
	v_lshrrev_b32_e32 v11, v10, v6
	v_lshlrev_b32_e32 v10, v10, v11
	v_cmp_ne_u32_e64 s[0:1], v10, v6
	v_cndmask_b32_e64 v6, 0, 1, s[0:1]
	v_add_u32_e32 v7, 0xfffffc10, v7
	v_or_b32_e32 v6, v11, v6
	v_lshl_or_b32 v10, v7, 12, v5
	v_cmp_gt_i32_e64 s[0:1], 1, v7
	v_cndmask_b32_e64 v6, v10, v6, s[0:1]
	v_and_b32_e32 v10, 7, v6
	v_cmp_lt_i32_e64 s[0:1], 5, v10
	v_cmp_eq_u32_e64 s[2:3], 3, v10
	ds_read_b32 v10, v39 offset:672
	v_lshrrev_b32_e32 v6, 2, v6
	s_or_b64 s[0:1], s[2:3], s[0:1]
	v_addc_co_u32_e64 v6, s[0:1], 0, v6, s[0:1]
	s_waitcnt lgkmcnt(0)
	v_lshrrev_b32_e32 v11, 16, v10
	v_mul_f16_sdwa v12, v38, v11 dst_sel:DWORD dst_unused:UNUSED_PAD src0_sel:WORD_1 src1_sel:DWORD
	v_fma_f16 v12, v38, v10, v12
	v_cmp_gt_i32_e64 s[0:1], 31, v7
	v_cvt_f32_f16_e32 v12, v12
	v_cndmask_b32_e64 v6, v2, v6, s[0:1]
	v_cmp_ne_u32_e64 s[0:1], 0, v5
	v_cndmask_b32_e64 v5, 0, 1, s[0:1]
	v_lshl_or_b32 v5, v5, 9, v2
	v_cmp_eq_u32_e64 s[0:1], s11, v7
	v_cndmask_b32_e64 v7, v6, v5, s[0:1]
	v_cvt_f64_f32_e32 v[5:6], v12
	v_lshrrev_b32_e32 v8, 16, v8
	v_and_or_b32 v7, v8, s16, v7
	v_and_b32_e32 v8, 0xffff, v9
	v_mul_f64 v[5:6], v[5:6], s[14:15]
	v_lshl_or_b32 v7, v7, 16, v8
	v_mov_b32_e32 v8, s4
	v_add_co_u32_e64 v3, s[0:1], s5, v3
	v_addc_co_u32_e64 v4, s[0:1], v4, v8, s[0:1]
	global_store_dword v[3:4], v7, off
	v_and_or_b32 v5, v6, s17, v5
	v_cmp_ne_u32_e64 s[0:1], 0, v5
	v_cndmask_b32_e64 v5, 0, 1, s[0:1]
	v_lshrrev_b32_e32 v7, 8, v6
	v_bfe_u32 v8, v6, 20, 11
	v_and_or_b32 v5, v7, s10, v5
	v_sub_u32_e32 v9, 0x3f1, v8
	v_or_b32_e32 v7, 0x1000, v5
	v_med3_i32 v9, v9, 0, 13
	v_lshrrev_b32_e32 v12, v9, v7
	v_lshlrev_b32_e32 v9, v9, v12
	v_mul_f16_sdwa v10, v38, v10 dst_sel:DWORD dst_unused:UNUSED_PAD src0_sel:WORD_1 src1_sel:DWORD
	v_cmp_ne_u32_e64 s[0:1], v9, v7
	v_fma_f16 v10, v38, v11, -v10
	v_cndmask_b32_e64 v7, 0, 1, s[0:1]
	v_add_u32_e32 v9, 0xfffffc10, v8
	v_cvt_f32_f16_e32 v10, v10
	v_or_b32_e32 v7, v12, v7
	v_lshl_or_b32 v8, v9, 12, v5
	v_cmp_gt_i32_e64 s[0:1], 1, v9
	v_cndmask_b32_e64 v7, v8, v7, s[0:1]
	v_and_b32_e32 v8, 7, v7
	v_cmp_lt_i32_e64 s[0:1], 5, v8
	v_cmp_eq_u32_e64 s[2:3], 3, v8
	v_lshrrev_b32_e32 v11, 2, v7
	v_cvt_f64_f32_e32 v[7:8], v10
	s_or_b64 s[0:1], s[2:3], s[0:1]
	v_addc_co_u32_e64 v10, s[0:1], 0, v11, s[0:1]
	v_mul_f64 v[7:8], v[7:8], s[14:15]
	v_cmp_gt_i32_e64 s[0:1], 31, v9
	v_cndmask_b32_e64 v10, v2, v10, s[0:1]
	v_cmp_ne_u32_e64 s[0:1], 0, v5
	v_cndmask_b32_e64 v5, 0, 1, s[0:1]
	v_lshl_or_b32 v5, v5, 9, v2
	v_cmp_eq_u32_e64 s[0:1], s11, v9
	v_cndmask_b32_e64 v5, v10, v5, s[0:1]
	v_lshrrev_b32_e32 v6, 16, v6
	v_and_or_b32 v5, v6, s16, v5
	v_and_or_b32 v6, v8, s17, v7
	v_cmp_ne_u32_e64 s[0:1], 0, v6
	v_cndmask_b32_e64 v6, 0, 1, s[0:1]
	v_lshrrev_b32_e32 v7, 8, v8
	v_bfe_u32 v9, v8, 20, 11
	v_and_or_b32 v6, v7, s10, v6
	v_sub_u32_e32 v10, 0x3f1, v9
	v_or_b32_e32 v7, 0x1000, v6
	v_med3_i32 v10, v10, 0, 13
	v_lshrrev_b32_e32 v11, v10, v7
	v_lshlrev_b32_e32 v10, v10, v11
	v_cmp_ne_u32_e64 s[0:1], v10, v7
	v_cndmask_b32_e64 v7, 0, 1, s[0:1]
	v_add_u32_e32 v9, 0xfffffc10, v9
	v_or_b32_e32 v7, v11, v7
	v_lshl_or_b32 v10, v9, 12, v6
	v_cmp_gt_i32_e64 s[0:1], 1, v9
	v_cndmask_b32_e64 v7, v10, v7, s[0:1]
	v_and_b32_e32 v10, 7, v7
	v_cmp_lt_i32_e64 s[0:1], 5, v10
	v_cmp_eq_u32_e64 s[2:3], 3, v10
	v_lshrrev_b32_e32 v7, 2, v7
	s_or_b64 s[0:1], s[2:3], s[0:1]
	v_addc_co_u32_e64 v7, s[0:1], 0, v7, s[0:1]
	v_cmp_gt_i32_e64 s[0:1], 31, v9
	v_cndmask_b32_e64 v7, v2, v7, s[0:1]
	v_cmp_ne_u32_e64 s[0:1], 0, v6
	v_cndmask_b32_e64 v6, 0, 1, s[0:1]
	v_lshl_or_b32 v6, v6, 9, v2
	v_cmp_eq_u32_e64 s[0:1], s11, v9
	v_cndmask_b32_e64 v6, v7, v6, s[0:1]
	v_lshrrev_b32_e32 v7, 16, v8
	v_and_or_b32 v6, v7, s16, v6
	v_and_b32_e32 v5, 0xffff, v5
	v_lshl_or_b32 v5, v6, 16, v5
	v_mov_b32_e32 v6, s4
	v_add_co_u32_e64 v3, s[0:1], s5, v3
	v_addc_co_u32_e64 v4, s[0:1], v4, v6, s[0:1]
	global_store_dword v[3:4], v5, off
	s_and_b64 exec, exec, vcc
	s_cbranch_execz .LBB0_15
; %bb.14:
	v_mov_b32_e32 v3, 0
	global_load_dword v6, v3, s[6:7] offset:52
	ds_read2_b32 v[4:5], v37 offset0:13 offset1:27
	s_waitcnt lgkmcnt(0)
	v_lshrrev_b32_e32 v7, 16, v4
	s_waitcnt vmcnt(0)
	v_mul_f16_sdwa v8, v7, v6 dst_sel:DWORD dst_unused:UNUSED_PAD src0_sel:DWORD src1_sel:WORD_1
	v_fma_f16 v8, v4, v6, v8
	v_mul_f16_sdwa v4, v4, v6 dst_sel:DWORD dst_unused:UNUSED_PAD src0_sel:DWORD src1_sel:WORD_1
	v_cvt_f32_f16_e32 v8, v8
	v_fma_f16 v4, v6, v7, -v4
	v_cvt_f32_f16_e32 v4, v4
	v_cvt_f64_f32_e32 v[6:7], v8
	v_mad_u64_u32 v[8:9], s[0:1], s8, 52, v[0:1]
	v_cvt_f64_f32_e32 v[10:11], v4
	v_mul_f64 v[6:7], v[6:7], s[14:15]
	v_mov_b32_e32 v4, v9
	v_mad_u64_u32 v[12:13], s[0:1], s9, 52, v[4:5]
	v_mul_f64 v[10:11], v[10:11], s[14:15]
	v_mov_b32_e32 v9, v12
	v_and_or_b32 v4, v7, s17, v6
	v_cmp_ne_u32_e32 vcc, 0, v4
	v_lshrrev_b32_e32 v6, 8, v7
	v_bfe_u32 v12, v7, 20, 11
	v_and_or_b32 v10, v11, s17, v10
	v_cndmask_b32_e64 v4, 0, 1, vcc
	v_cmp_ne_u32_e32 vcc, 0, v10
	v_lshrrev_b32_e32 v13, 8, v11
	v_bfe_u32 v14, v11, 20, 11
	v_sub_u32_e32 v15, 0x3f1, v12
	v_cndmask_b32_e64 v10, 0, 1, vcc
	v_and_or_b32 v4, v6, s10, v4
	v_sub_u32_e32 v16, 0x3f1, v14
	v_med3_i32 v6, v15, 0, 13
	v_and_or_b32 v10, v13, s10, v10
	v_or_b32_e32 v15, 0x1000, v4
	v_add_u32_e32 v12, 0xfffffc10, v12
	v_med3_i32 v13, v16, 0, 13
	v_cmp_ne_u32_e32 vcc, 0, v4
	v_or_b32_e32 v17, 0x1000, v10
	v_lshrrev_b32_e32 v19, v6, v15
	v_add_u32_e32 v14, 0xfffffc10, v14
	v_lshl_or_b32 v16, v12, 12, v4
	v_cndmask_b32_e64 v4, 0, 1, vcc
	v_cmp_ne_u32_e32 vcc, 0, v10
	v_lshrrev_b32_e32 v20, v13, v17
	v_lshlrev_b32_e32 v6, v6, v19
	v_lshl_or_b32 v18, v14, 12, v10
	v_cndmask_b32_e64 v10, 0, 1, vcc
	v_lshlrev_b32_e32 v13, v13, v20
	v_cmp_ne_u32_e32 vcc, v6, v15
	v_cndmask_b32_e64 v6, 0, 1, vcc
	v_cmp_ne_u32_e32 vcc, v13, v17
	v_cndmask_b32_e64 v13, 0, 1, vcc
	v_or_b32_e32 v6, v19, v6
	v_cmp_gt_i32_e32 vcc, 1, v12
	v_cndmask_b32_e32 v6, v16, v6, vcc
	v_or_b32_e32 v13, v20, v13
	v_cmp_gt_i32_e32 vcc, 1, v14
	v_and_b32_e32 v15, 7, v6
	v_cndmask_b32_e32 v13, v18, v13, vcc
	v_cmp_lt_i32_e32 vcc, 5, v15
	v_cmp_eq_u32_e64 s[0:1], 3, v15
	v_lshrrev_b32_e32 v6, 2, v6
	v_and_b32_e32 v16, 7, v13
	s_or_b64 vcc, s[0:1], vcc
	v_cmp_lt_i32_e64 s[2:3], 5, v16
	v_cmp_eq_u32_e64 s[4:5], 3, v16
	v_addc_co_u32_e32 v6, vcc, 0, v6, vcc
	v_lshrrev_b32_e32 v13, 2, v13
	s_or_b64 vcc, s[4:5], s[2:3]
	v_addc_co_u32_e32 v13, vcc, 0, v13, vcc
	v_cmp_gt_i32_e32 vcc, 31, v12
	v_cndmask_b32_e32 v6, v2, v6, vcc
	v_cmp_gt_i32_e32 vcc, 31, v14
	v_lshl_or_b32 v4, v4, 9, v2
	v_cndmask_b32_e32 v13, v2, v13, vcc
	v_cmp_eq_u32_e32 vcc, s11, v12
	v_lshrrev_b32_e32 v7, 16, v7
	v_lshl_or_b32 v10, v10, 9, v2
	v_cndmask_b32_e32 v4, v6, v4, vcc
	v_cmp_eq_u32_e32 vcc, s11, v14
	v_lshrrev_b32_e32 v11, 16, v11
	v_cndmask_b32_e32 v6, v13, v10, vcc
	v_and_or_b32 v4, v7, s16, v4
	v_and_or_b32 v6, v11, s16, v6
	v_and_b32_e32 v4, 0xffff, v4
	v_lshl_or_b32 v4, v6, 16, v4
	global_store_dword v[8:9], v4, off
	global_load_dword v4, v3, s[6:7] offset:108
	v_lshrrev_b32_e32 v6, 16, v5
	v_mov_b32_e32 v8, 0x6c
	v_mad_u64_u32 v[8:9], s[0:1], s8, v8, v[0:1]
	s_mul_i32 s0, s9, 0x6c
	v_add_u32_e32 v9, s0, v9
	s_waitcnt vmcnt(0)
	v_mul_f16_sdwa v7, v6, v4 dst_sel:DWORD dst_unused:UNUSED_PAD src0_sel:DWORD src1_sel:WORD_1
	v_fma_f16 v7, v5, v4, v7
	v_mul_f16_sdwa v5, v5, v4 dst_sel:DWORD dst_unused:UNUSED_PAD src0_sel:DWORD src1_sel:WORD_1
	v_cvt_f32_f16_e32 v7, v7
	v_fma_f16 v4, v4, v6, -v5
	v_cvt_f32_f16_e32 v6, v4
	v_cvt_f64_f32_e32 v[4:5], v7
	v_cvt_f64_f32_e32 v[6:7], v6
	v_mul_f64 v[4:5], v[4:5], s[14:15]
	v_mul_f64 v[6:7], v[6:7], s[14:15]
	v_and_or_b32 v4, v5, s17, v4
	v_cmp_ne_u32_e32 vcc, 0, v4
	v_and_or_b32 v6, v7, s17, v6
	v_lshrrev_b32_e32 v10, 8, v5
	v_bfe_u32 v11, v5, 20, 11
	v_cndmask_b32_e64 v4, 0, 1, vcc
	v_cmp_ne_u32_e32 vcc, 0, v6
	v_lshrrev_b32_e32 v12, 8, v7
	v_bfe_u32 v13, v7, 20, 11
	v_sub_u32_e32 v14, 0x3f1, v11
	v_cndmask_b32_e64 v6, 0, 1, vcc
	v_and_or_b32 v4, v10, s10, v4
	v_sub_u32_e32 v15, 0x3f1, v13
	v_med3_i32 v10, v14, 0, 13
	v_and_or_b32 v6, v12, s10, v6
	v_or_b32_e32 v14, 0x1000, v4
	v_add_u32_e32 v11, 0xfffffc10, v11
	v_med3_i32 v12, v15, 0, 13
	v_cmp_ne_u32_e32 vcc, 0, v4
	v_or_b32_e32 v16, 0x1000, v6
	v_lshrrev_b32_e32 v18, v10, v14
	v_add_u32_e32 v13, 0xfffffc10, v13
	v_lshl_or_b32 v15, v11, 12, v4
	v_cndmask_b32_e64 v4, 0, 1, vcc
	v_cmp_ne_u32_e32 vcc, 0, v6
	v_lshrrev_b32_e32 v19, v12, v16
	v_lshlrev_b32_e32 v10, v10, v18
	v_lshl_or_b32 v17, v13, 12, v6
	v_cndmask_b32_e64 v6, 0, 1, vcc
	v_lshlrev_b32_e32 v12, v12, v19
	v_cmp_ne_u32_e32 vcc, v10, v14
	v_cndmask_b32_e64 v10, 0, 1, vcc
	v_cmp_ne_u32_e32 vcc, v12, v16
	v_cndmask_b32_e64 v12, 0, 1, vcc
	v_or_b32_e32 v10, v18, v10
	v_cmp_gt_i32_e32 vcc, 1, v11
	v_cndmask_b32_e32 v10, v15, v10, vcc
	v_or_b32_e32 v12, v19, v12
	v_cmp_gt_i32_e32 vcc, 1, v13
	v_and_b32_e32 v14, 7, v10
	v_cndmask_b32_e32 v12, v17, v12, vcc
	v_cmp_lt_i32_e32 vcc, 5, v14
	v_cmp_eq_u32_e64 s[0:1], 3, v14
	v_lshrrev_b32_e32 v10, 2, v10
	v_and_b32_e32 v15, 7, v12
	s_or_b64 vcc, s[0:1], vcc
	v_cmp_lt_i32_e64 s[2:3], 5, v15
	v_cmp_eq_u32_e64 s[4:5], 3, v15
	v_addc_co_u32_e32 v10, vcc, 0, v10, vcc
	v_lshrrev_b32_e32 v12, 2, v12
	s_or_b64 vcc, s[4:5], s[2:3]
	v_addc_co_u32_e32 v12, vcc, 0, v12, vcc
	v_cmp_gt_i32_e32 vcc, 31, v11
	v_cndmask_b32_e32 v10, v2, v10, vcc
	v_cmp_gt_i32_e32 vcc, 31, v13
	v_lshl_or_b32 v4, v4, 9, v2
	v_cndmask_b32_e32 v12, v2, v12, vcc
	v_cmp_eq_u32_e32 vcc, s11, v11
	v_lshrrev_b32_e32 v5, 16, v5
	v_lshl_or_b32 v6, v6, 9, v2
	v_cndmask_b32_e32 v4, v10, v4, vcc
	v_cmp_eq_u32_e32 vcc, s11, v13
	v_lshrrev_b32_e32 v7, 16, v7
	v_cndmask_b32_e32 v6, v12, v6, vcc
	v_and_or_b32 v4, v5, s16, v4
	v_and_or_b32 v5, v7, s16, v6
	v_and_b32_e32 v4, 0xffff, v4
	v_lshl_or_b32 v4, v5, 16, v4
	global_store_dword v[8:9], v4, off
	global_load_dword v6, v3, s[6:7] offset:164
	ds_read2_b32 v[4:5], v37 offset0:41 offset1:55
	s_waitcnt lgkmcnt(0)
	v_lshrrev_b32_e32 v7, 16, v4
	s_waitcnt vmcnt(0)
	v_mul_f16_sdwa v8, v7, v6 dst_sel:DWORD dst_unused:UNUSED_PAD src0_sel:DWORD src1_sel:WORD_1
	v_fma_f16 v8, v4, v6, v8
	v_mul_f16_sdwa v4, v4, v6 dst_sel:DWORD dst_unused:UNUSED_PAD src0_sel:DWORD src1_sel:WORD_1
	v_cvt_f32_f16_e32 v8, v8
	v_fma_f16 v4, v6, v7, -v4
	v_cvt_f32_f16_e32 v4, v4
	v_cvt_f64_f32_e32 v[6:7], v8
	v_cvt_f64_f32_e32 v[8:9], v4
	v_mov_b32_e32 v4, 0xa4
	v_mul_f64 v[6:7], v[6:7], s[14:15]
	v_mad_u64_u32 v[10:11], s[0:1], s8, v4, v[0:1]
	v_mul_f64 v[8:9], v[8:9], s[14:15]
	s_mul_i32 s0, s9, 0xa4
	v_add_u32_e32 v11, s0, v11
	v_and_or_b32 v4, v7, s17, v6
	v_cmp_ne_u32_e32 vcc, 0, v4
	v_lshrrev_b32_e32 v6, 8, v7
	v_and_or_b32 v8, v9, s17, v8
	v_bfe_u32 v12, v7, 20, 11
	v_cndmask_b32_e64 v4, 0, 1, vcc
	v_cmp_ne_u32_e32 vcc, 0, v8
	v_lshrrev_b32_e32 v13, 8, v9
	v_bfe_u32 v14, v9, 20, 11
	v_sub_u32_e32 v15, 0x3f1, v12
	v_cndmask_b32_e64 v8, 0, 1, vcc
	v_and_or_b32 v4, v6, s10, v4
	v_sub_u32_e32 v16, 0x3f1, v14
	v_med3_i32 v6, v15, 0, 13
	v_and_or_b32 v8, v13, s10, v8
	v_or_b32_e32 v15, 0x1000, v4
	v_add_u32_e32 v12, 0xfffffc10, v12
	v_med3_i32 v13, v16, 0, 13
	v_cmp_ne_u32_e32 vcc, 0, v4
	v_or_b32_e32 v17, 0x1000, v8
	v_lshrrev_b32_e32 v19, v6, v15
	v_add_u32_e32 v14, 0xfffffc10, v14
	v_lshl_or_b32 v16, v12, 12, v4
	v_cndmask_b32_e64 v4, 0, 1, vcc
	v_cmp_ne_u32_e32 vcc, 0, v8
	v_lshrrev_b32_e32 v20, v13, v17
	v_lshlrev_b32_e32 v6, v6, v19
	v_lshl_or_b32 v18, v14, 12, v8
	v_cndmask_b32_e64 v8, 0, 1, vcc
	v_lshlrev_b32_e32 v13, v13, v20
	v_cmp_ne_u32_e32 vcc, v6, v15
	v_cndmask_b32_e64 v6, 0, 1, vcc
	v_cmp_ne_u32_e32 vcc, v13, v17
	v_cndmask_b32_e64 v13, 0, 1, vcc
	v_or_b32_e32 v6, v19, v6
	v_cmp_gt_i32_e32 vcc, 1, v12
	v_cndmask_b32_e32 v6, v16, v6, vcc
	v_or_b32_e32 v13, v20, v13
	v_cmp_gt_i32_e32 vcc, 1, v14
	v_and_b32_e32 v15, 7, v6
	v_cndmask_b32_e32 v13, v18, v13, vcc
	v_cmp_lt_i32_e32 vcc, 5, v15
	v_cmp_eq_u32_e64 s[0:1], 3, v15
	v_lshrrev_b32_e32 v6, 2, v6
	v_and_b32_e32 v16, 7, v13
	s_or_b64 vcc, s[0:1], vcc
	v_cmp_lt_i32_e64 s[2:3], 5, v16
	v_cmp_eq_u32_e64 s[4:5], 3, v16
	v_addc_co_u32_e32 v6, vcc, 0, v6, vcc
	v_lshrrev_b32_e32 v13, 2, v13
	s_or_b64 vcc, s[4:5], s[2:3]
	v_addc_co_u32_e32 v13, vcc, 0, v13, vcc
	v_cmp_gt_i32_e32 vcc, 31, v12
	v_cndmask_b32_e32 v6, v2, v6, vcc
	v_cmp_gt_i32_e32 vcc, 31, v14
	v_lshl_or_b32 v4, v4, 9, v2
	v_cndmask_b32_e32 v13, v2, v13, vcc
	v_cmp_eq_u32_e32 vcc, s11, v12
	v_lshrrev_b32_e32 v7, 16, v7
	v_lshl_or_b32 v8, v8, 9, v2
	v_cndmask_b32_e32 v4, v6, v4, vcc
	v_cmp_eq_u32_e32 vcc, s11, v14
	v_lshrrev_b32_e32 v9, 16, v9
	v_cndmask_b32_e32 v6, v13, v8, vcc
	v_and_or_b32 v4, v7, s16, v4
	v_and_or_b32 v6, v9, s16, v6
	v_and_b32_e32 v4, 0xffff, v4
	v_lshl_or_b32 v4, v6, 16, v4
	global_store_dword v[10:11], v4, off
	global_load_dword v4, v3, s[6:7] offset:220
	v_lshrrev_b32_e32 v6, 16, v5
	v_mov_b32_e32 v8, 0xdc
	v_mad_u64_u32 v[8:9], s[0:1], s8, v8, v[0:1]
	s_mul_i32 s0, s9, 0xdc
	v_add_u32_e32 v9, s0, v9
	s_waitcnt vmcnt(0)
	v_mul_f16_sdwa v7, v6, v4 dst_sel:DWORD dst_unused:UNUSED_PAD src0_sel:DWORD src1_sel:WORD_1
	v_fma_f16 v7, v5, v4, v7
	v_mul_f16_sdwa v5, v5, v4 dst_sel:DWORD dst_unused:UNUSED_PAD src0_sel:DWORD src1_sel:WORD_1
	v_cvt_f32_f16_e32 v7, v7
	v_fma_f16 v4, v4, v6, -v5
	v_cvt_f32_f16_e32 v6, v4
	v_cvt_f64_f32_e32 v[4:5], v7
	v_cvt_f64_f32_e32 v[6:7], v6
	v_mul_f64 v[4:5], v[4:5], s[14:15]
	v_mul_f64 v[6:7], v[6:7], s[14:15]
	v_and_or_b32 v4, v5, s17, v4
	v_cmp_ne_u32_e32 vcc, 0, v4
	v_and_or_b32 v6, v7, s17, v6
	v_lshrrev_b32_e32 v10, 8, v5
	v_bfe_u32 v11, v5, 20, 11
	v_cndmask_b32_e64 v4, 0, 1, vcc
	v_cmp_ne_u32_e32 vcc, 0, v6
	v_lshrrev_b32_e32 v12, 8, v7
	v_bfe_u32 v13, v7, 20, 11
	v_sub_u32_e32 v14, 0x3f1, v11
	v_cndmask_b32_e64 v6, 0, 1, vcc
	v_and_or_b32 v4, v10, s10, v4
	v_sub_u32_e32 v15, 0x3f1, v13
	v_med3_i32 v10, v14, 0, 13
	v_and_or_b32 v6, v12, s10, v6
	v_or_b32_e32 v14, 0x1000, v4
	v_add_u32_e32 v11, 0xfffffc10, v11
	v_med3_i32 v12, v15, 0, 13
	v_cmp_ne_u32_e32 vcc, 0, v4
	v_or_b32_e32 v16, 0x1000, v6
	v_lshrrev_b32_e32 v18, v10, v14
	v_add_u32_e32 v13, 0xfffffc10, v13
	v_lshl_or_b32 v15, v11, 12, v4
	v_cndmask_b32_e64 v4, 0, 1, vcc
	v_cmp_ne_u32_e32 vcc, 0, v6
	v_lshrrev_b32_e32 v19, v12, v16
	v_lshlrev_b32_e32 v10, v10, v18
	v_lshl_or_b32 v17, v13, 12, v6
	v_cndmask_b32_e64 v6, 0, 1, vcc
	v_lshlrev_b32_e32 v12, v12, v19
	v_cmp_ne_u32_e32 vcc, v10, v14
	v_cndmask_b32_e64 v10, 0, 1, vcc
	v_cmp_ne_u32_e32 vcc, v12, v16
	v_cndmask_b32_e64 v12, 0, 1, vcc
	v_or_b32_e32 v10, v18, v10
	v_cmp_gt_i32_e32 vcc, 1, v11
	v_cndmask_b32_e32 v10, v15, v10, vcc
	v_or_b32_e32 v12, v19, v12
	v_cmp_gt_i32_e32 vcc, 1, v13
	v_and_b32_e32 v14, 7, v10
	v_cndmask_b32_e32 v12, v17, v12, vcc
	v_cmp_lt_i32_e32 vcc, 5, v14
	v_cmp_eq_u32_e64 s[0:1], 3, v14
	v_lshrrev_b32_e32 v10, 2, v10
	v_and_b32_e32 v15, 7, v12
	s_or_b64 vcc, s[0:1], vcc
	v_cmp_lt_i32_e64 s[2:3], 5, v15
	v_cmp_eq_u32_e64 s[4:5], 3, v15
	v_addc_co_u32_e32 v10, vcc, 0, v10, vcc
	v_lshrrev_b32_e32 v12, 2, v12
	s_or_b64 vcc, s[4:5], s[2:3]
	v_addc_co_u32_e32 v12, vcc, 0, v12, vcc
	v_cmp_gt_i32_e32 vcc, 31, v11
	v_cndmask_b32_e32 v10, v2, v10, vcc
	v_cmp_gt_i32_e32 vcc, 31, v13
	v_lshl_or_b32 v4, v4, 9, v2
	v_cndmask_b32_e32 v12, v2, v12, vcc
	v_cmp_eq_u32_e32 vcc, s11, v11
	v_lshrrev_b32_e32 v5, 16, v5
	v_lshl_or_b32 v6, v6, 9, v2
	v_cndmask_b32_e32 v4, v10, v4, vcc
	v_cmp_eq_u32_e32 vcc, s11, v13
	v_lshrrev_b32_e32 v7, 16, v7
	v_cndmask_b32_e32 v6, v12, v6, vcc
	v_and_or_b32 v4, v5, s16, v4
	v_and_or_b32 v5, v7, s16, v6
	v_and_b32_e32 v4, 0xffff, v4
	v_lshl_or_b32 v4, v5, 16, v4
	global_store_dword v[8:9], v4, off
	global_load_dword v6, v3, s[6:7] offset:276
	ds_read2_b32 v[4:5], v37 offset0:69 offset1:83
	s_waitcnt lgkmcnt(0)
	v_lshrrev_b32_e32 v7, 16, v4
	s_waitcnt vmcnt(0)
	v_mul_f16_sdwa v8, v7, v6 dst_sel:DWORD dst_unused:UNUSED_PAD src0_sel:DWORD src1_sel:WORD_1
	v_fma_f16 v8, v4, v6, v8
	v_mul_f16_sdwa v4, v4, v6 dst_sel:DWORD dst_unused:UNUSED_PAD src0_sel:DWORD src1_sel:WORD_1
	v_cvt_f32_f16_e32 v8, v8
	v_fma_f16 v4, v6, v7, -v4
	v_cvt_f32_f16_e32 v4, v4
	v_cvt_f64_f32_e32 v[6:7], v8
	v_cvt_f64_f32_e32 v[8:9], v4
	v_mov_b32_e32 v4, 0x114
	v_mul_f64 v[6:7], v[6:7], s[14:15]
	v_mad_u64_u32 v[10:11], s[0:1], s8, v4, v[0:1]
	v_mul_f64 v[8:9], v[8:9], s[14:15]
	s_mul_i32 s0, s9, 0x114
	v_add_u32_e32 v11, s0, v11
	v_and_or_b32 v4, v7, s17, v6
	v_cmp_ne_u32_e32 vcc, 0, v4
	v_lshrrev_b32_e32 v6, 8, v7
	v_and_or_b32 v8, v9, s17, v8
	v_bfe_u32 v12, v7, 20, 11
	v_cndmask_b32_e64 v4, 0, 1, vcc
	v_cmp_ne_u32_e32 vcc, 0, v8
	v_lshrrev_b32_e32 v13, 8, v9
	v_bfe_u32 v14, v9, 20, 11
	v_sub_u32_e32 v15, 0x3f1, v12
	v_cndmask_b32_e64 v8, 0, 1, vcc
	v_and_or_b32 v4, v6, s10, v4
	v_sub_u32_e32 v16, 0x3f1, v14
	v_med3_i32 v6, v15, 0, 13
	v_and_or_b32 v8, v13, s10, v8
	v_or_b32_e32 v15, 0x1000, v4
	v_add_u32_e32 v12, 0xfffffc10, v12
	v_med3_i32 v13, v16, 0, 13
	v_cmp_ne_u32_e32 vcc, 0, v4
	v_or_b32_e32 v17, 0x1000, v8
	v_lshrrev_b32_e32 v19, v6, v15
	v_add_u32_e32 v14, 0xfffffc10, v14
	v_lshl_or_b32 v16, v12, 12, v4
	v_cndmask_b32_e64 v4, 0, 1, vcc
	v_cmp_ne_u32_e32 vcc, 0, v8
	v_lshrrev_b32_e32 v20, v13, v17
	v_lshlrev_b32_e32 v6, v6, v19
	v_lshl_or_b32 v18, v14, 12, v8
	v_cndmask_b32_e64 v8, 0, 1, vcc
	v_lshlrev_b32_e32 v13, v13, v20
	v_cmp_ne_u32_e32 vcc, v6, v15
	v_cndmask_b32_e64 v6, 0, 1, vcc
	v_cmp_ne_u32_e32 vcc, v13, v17
	v_cndmask_b32_e64 v13, 0, 1, vcc
	v_or_b32_e32 v6, v19, v6
	v_cmp_gt_i32_e32 vcc, 1, v12
	v_cndmask_b32_e32 v6, v16, v6, vcc
	v_or_b32_e32 v13, v20, v13
	v_cmp_gt_i32_e32 vcc, 1, v14
	v_and_b32_e32 v15, 7, v6
	v_cndmask_b32_e32 v13, v18, v13, vcc
	v_cmp_lt_i32_e32 vcc, 5, v15
	v_cmp_eq_u32_e64 s[0:1], 3, v15
	v_lshrrev_b32_e32 v6, 2, v6
	v_and_b32_e32 v16, 7, v13
	s_or_b64 vcc, s[0:1], vcc
	v_cmp_lt_i32_e64 s[2:3], 5, v16
	v_cmp_eq_u32_e64 s[4:5], 3, v16
	v_addc_co_u32_e32 v6, vcc, 0, v6, vcc
	v_lshrrev_b32_e32 v13, 2, v13
	s_or_b64 vcc, s[4:5], s[2:3]
	v_addc_co_u32_e32 v13, vcc, 0, v13, vcc
	v_cmp_gt_i32_e32 vcc, 31, v12
	v_cndmask_b32_e32 v6, v2, v6, vcc
	v_cmp_gt_i32_e32 vcc, 31, v14
	v_lshl_or_b32 v4, v4, 9, v2
	v_cndmask_b32_e32 v13, v2, v13, vcc
	v_cmp_eq_u32_e32 vcc, s11, v12
	v_lshrrev_b32_e32 v7, 16, v7
	v_lshl_or_b32 v8, v8, 9, v2
	v_cndmask_b32_e32 v4, v6, v4, vcc
	v_cmp_eq_u32_e32 vcc, s11, v14
	v_lshrrev_b32_e32 v9, 16, v9
	v_cndmask_b32_e32 v6, v13, v8, vcc
	v_and_or_b32 v4, v7, s16, v4
	v_and_or_b32 v6, v9, s16, v6
	v_and_b32_e32 v4, 0xffff, v4
	v_lshl_or_b32 v4, v6, 16, v4
	global_store_dword v[10:11], v4, off
	global_load_dword v4, v3, s[6:7] offset:332
	v_lshrrev_b32_e32 v6, 16, v5
	v_mov_b32_e32 v8, 0x14c
	v_mad_u64_u32 v[8:9], s[0:1], s8, v8, v[0:1]
	s_mul_i32 s0, s9, 0x14c
	v_add_u32_e32 v9, s0, v9
	s_waitcnt vmcnt(0)
	v_mul_f16_sdwa v7, v6, v4 dst_sel:DWORD dst_unused:UNUSED_PAD src0_sel:DWORD src1_sel:WORD_1
	v_fma_f16 v7, v5, v4, v7
	v_mul_f16_sdwa v5, v5, v4 dst_sel:DWORD dst_unused:UNUSED_PAD src0_sel:DWORD src1_sel:WORD_1
	v_cvt_f32_f16_e32 v7, v7
	v_fma_f16 v4, v4, v6, -v5
	v_cvt_f32_f16_e32 v6, v4
	v_cvt_f64_f32_e32 v[4:5], v7
	v_cvt_f64_f32_e32 v[6:7], v6
	v_mul_f64 v[4:5], v[4:5], s[14:15]
	v_mul_f64 v[6:7], v[6:7], s[14:15]
	v_and_or_b32 v4, v5, s17, v4
	v_cmp_ne_u32_e32 vcc, 0, v4
	v_and_or_b32 v6, v7, s17, v6
	v_lshrrev_b32_e32 v10, 8, v5
	v_bfe_u32 v11, v5, 20, 11
	v_cndmask_b32_e64 v4, 0, 1, vcc
	v_cmp_ne_u32_e32 vcc, 0, v6
	v_lshrrev_b32_e32 v12, 8, v7
	v_bfe_u32 v13, v7, 20, 11
	v_sub_u32_e32 v14, 0x3f1, v11
	v_cndmask_b32_e64 v6, 0, 1, vcc
	v_and_or_b32 v4, v10, s10, v4
	v_sub_u32_e32 v15, 0x3f1, v13
	v_med3_i32 v10, v14, 0, 13
	v_and_or_b32 v6, v12, s10, v6
	v_or_b32_e32 v14, 0x1000, v4
	v_add_u32_e32 v11, 0xfffffc10, v11
	v_med3_i32 v12, v15, 0, 13
	v_cmp_ne_u32_e32 vcc, 0, v4
	v_or_b32_e32 v16, 0x1000, v6
	v_lshrrev_b32_e32 v18, v10, v14
	v_add_u32_e32 v13, 0xfffffc10, v13
	v_lshl_or_b32 v15, v11, 12, v4
	v_cndmask_b32_e64 v4, 0, 1, vcc
	v_cmp_ne_u32_e32 vcc, 0, v6
	v_lshrrev_b32_e32 v19, v12, v16
	v_lshlrev_b32_e32 v10, v10, v18
	v_lshl_or_b32 v17, v13, 12, v6
	v_cndmask_b32_e64 v6, 0, 1, vcc
	v_lshlrev_b32_e32 v12, v12, v19
	v_cmp_ne_u32_e32 vcc, v10, v14
	v_cndmask_b32_e64 v10, 0, 1, vcc
	v_cmp_ne_u32_e32 vcc, v12, v16
	v_cndmask_b32_e64 v12, 0, 1, vcc
	v_or_b32_e32 v10, v18, v10
	v_cmp_gt_i32_e32 vcc, 1, v11
	v_cndmask_b32_e32 v10, v15, v10, vcc
	v_or_b32_e32 v12, v19, v12
	v_cmp_gt_i32_e32 vcc, 1, v13
	v_and_b32_e32 v14, 7, v10
	v_cndmask_b32_e32 v12, v17, v12, vcc
	v_cmp_lt_i32_e32 vcc, 5, v14
	v_cmp_eq_u32_e64 s[0:1], 3, v14
	v_lshrrev_b32_e32 v10, 2, v10
	v_and_b32_e32 v15, 7, v12
	s_or_b64 vcc, s[0:1], vcc
	v_cmp_lt_i32_e64 s[2:3], 5, v15
	v_cmp_eq_u32_e64 s[4:5], 3, v15
	v_addc_co_u32_e32 v10, vcc, 0, v10, vcc
	v_lshrrev_b32_e32 v12, 2, v12
	s_or_b64 vcc, s[4:5], s[2:3]
	v_addc_co_u32_e32 v12, vcc, 0, v12, vcc
	v_cmp_gt_i32_e32 vcc, 31, v11
	v_cndmask_b32_e32 v10, v2, v10, vcc
	v_cmp_gt_i32_e32 vcc, 31, v13
	v_lshl_or_b32 v4, v4, 9, v2
	v_cndmask_b32_e32 v12, v2, v12, vcc
	v_cmp_eq_u32_e32 vcc, s11, v11
	v_lshrrev_b32_e32 v5, 16, v5
	v_lshl_or_b32 v6, v6, 9, v2
	v_cndmask_b32_e32 v4, v10, v4, vcc
	v_cmp_eq_u32_e32 vcc, s11, v13
	v_lshrrev_b32_e32 v7, 16, v7
	v_cndmask_b32_e32 v6, v12, v6, vcc
	v_and_or_b32 v4, v5, s16, v4
	v_and_or_b32 v5, v7, s16, v6
	v_and_b32_e32 v4, 0xffff, v4
	v_lshl_or_b32 v4, v5, 16, v4
	global_store_dword v[8:9], v4, off
	global_load_dword v6, v3, s[6:7] offset:388
	ds_read2_b32 v[4:5], v37 offset0:97 offset1:111
	s_waitcnt lgkmcnt(0)
	v_lshrrev_b32_e32 v7, 16, v4
	s_waitcnt vmcnt(0)
	v_mul_f16_sdwa v8, v7, v6 dst_sel:DWORD dst_unused:UNUSED_PAD src0_sel:DWORD src1_sel:WORD_1
	v_fma_f16 v8, v4, v6, v8
	v_mul_f16_sdwa v4, v4, v6 dst_sel:DWORD dst_unused:UNUSED_PAD src0_sel:DWORD src1_sel:WORD_1
	v_cvt_f32_f16_e32 v8, v8
	v_fma_f16 v4, v6, v7, -v4
	v_cvt_f32_f16_e32 v4, v4
	v_cvt_f64_f32_e32 v[6:7], v8
	v_cvt_f64_f32_e32 v[8:9], v4
	v_mov_b32_e32 v4, 0x184
	v_mul_f64 v[6:7], v[6:7], s[14:15]
	v_mad_u64_u32 v[10:11], s[0:1], s8, v4, v[0:1]
	v_mul_f64 v[8:9], v[8:9], s[14:15]
	s_mul_i32 s0, s9, 0x184
	v_add_u32_e32 v11, s0, v11
	v_and_or_b32 v4, v7, s17, v6
	v_cmp_ne_u32_e32 vcc, 0, v4
	v_lshrrev_b32_e32 v6, 8, v7
	v_and_or_b32 v8, v9, s17, v8
	v_bfe_u32 v12, v7, 20, 11
	v_cndmask_b32_e64 v4, 0, 1, vcc
	v_cmp_ne_u32_e32 vcc, 0, v8
	v_lshrrev_b32_e32 v13, 8, v9
	v_bfe_u32 v14, v9, 20, 11
	v_sub_u32_e32 v15, 0x3f1, v12
	v_cndmask_b32_e64 v8, 0, 1, vcc
	v_and_or_b32 v4, v6, s10, v4
	v_sub_u32_e32 v16, 0x3f1, v14
	v_med3_i32 v6, v15, 0, 13
	v_and_or_b32 v8, v13, s10, v8
	v_or_b32_e32 v15, 0x1000, v4
	v_add_u32_e32 v12, 0xfffffc10, v12
	v_med3_i32 v13, v16, 0, 13
	v_cmp_ne_u32_e32 vcc, 0, v4
	v_or_b32_e32 v17, 0x1000, v8
	v_lshrrev_b32_e32 v19, v6, v15
	v_add_u32_e32 v14, 0xfffffc10, v14
	v_lshl_or_b32 v16, v12, 12, v4
	v_cndmask_b32_e64 v4, 0, 1, vcc
	v_cmp_ne_u32_e32 vcc, 0, v8
	v_lshrrev_b32_e32 v20, v13, v17
	v_lshlrev_b32_e32 v6, v6, v19
	v_lshl_or_b32 v18, v14, 12, v8
	v_cndmask_b32_e64 v8, 0, 1, vcc
	v_lshlrev_b32_e32 v13, v13, v20
	v_cmp_ne_u32_e32 vcc, v6, v15
	v_cndmask_b32_e64 v6, 0, 1, vcc
	v_cmp_ne_u32_e32 vcc, v13, v17
	v_cndmask_b32_e64 v13, 0, 1, vcc
	v_or_b32_e32 v6, v19, v6
	v_cmp_gt_i32_e32 vcc, 1, v12
	v_cndmask_b32_e32 v6, v16, v6, vcc
	v_or_b32_e32 v13, v20, v13
	v_cmp_gt_i32_e32 vcc, 1, v14
	v_and_b32_e32 v15, 7, v6
	v_cndmask_b32_e32 v13, v18, v13, vcc
	v_cmp_lt_i32_e32 vcc, 5, v15
	v_cmp_eq_u32_e64 s[0:1], 3, v15
	v_lshrrev_b32_e32 v6, 2, v6
	v_and_b32_e32 v16, 7, v13
	s_or_b64 vcc, s[0:1], vcc
	v_cmp_lt_i32_e64 s[2:3], 5, v16
	v_cmp_eq_u32_e64 s[4:5], 3, v16
	v_addc_co_u32_e32 v6, vcc, 0, v6, vcc
	v_lshrrev_b32_e32 v13, 2, v13
	s_or_b64 vcc, s[4:5], s[2:3]
	v_addc_co_u32_e32 v13, vcc, 0, v13, vcc
	v_cmp_gt_i32_e32 vcc, 31, v12
	v_cndmask_b32_e32 v6, v2, v6, vcc
	v_cmp_gt_i32_e32 vcc, 31, v14
	v_lshl_or_b32 v4, v4, 9, v2
	v_cndmask_b32_e32 v13, v2, v13, vcc
	v_cmp_eq_u32_e32 vcc, s11, v12
	v_lshrrev_b32_e32 v7, 16, v7
	v_lshl_or_b32 v8, v8, 9, v2
	v_cndmask_b32_e32 v4, v6, v4, vcc
	v_cmp_eq_u32_e32 vcc, s11, v14
	v_lshrrev_b32_e32 v9, 16, v9
	v_cndmask_b32_e32 v6, v13, v8, vcc
	v_and_or_b32 v4, v7, s16, v4
	v_and_or_b32 v6, v9, s16, v6
	v_and_b32_e32 v4, 0xffff, v4
	v_lshl_or_b32 v4, v6, 16, v4
	global_store_dword v[10:11], v4, off
	global_load_dword v4, v3, s[6:7] offset:444
	v_lshrrev_b32_e32 v6, 16, v5
	v_mov_b32_e32 v8, 0x1bc
	v_mad_u64_u32 v[8:9], s[0:1], s8, v8, v[0:1]
	s_mul_i32 s0, s9, 0x1bc
	v_add_u32_e32 v9, s0, v9
	s_waitcnt vmcnt(0)
	v_mul_f16_sdwa v7, v6, v4 dst_sel:DWORD dst_unused:UNUSED_PAD src0_sel:DWORD src1_sel:WORD_1
	v_fma_f16 v7, v5, v4, v7
	v_mul_f16_sdwa v5, v5, v4 dst_sel:DWORD dst_unused:UNUSED_PAD src0_sel:DWORD src1_sel:WORD_1
	v_cvt_f32_f16_e32 v7, v7
	v_fma_f16 v4, v4, v6, -v5
	v_cvt_f32_f16_e32 v6, v4
	v_cvt_f64_f32_e32 v[4:5], v7
	v_cvt_f64_f32_e32 v[6:7], v6
	v_mul_f64 v[4:5], v[4:5], s[14:15]
	v_mul_f64 v[6:7], v[6:7], s[14:15]
	v_and_or_b32 v4, v5, s17, v4
	v_cmp_ne_u32_e32 vcc, 0, v4
	v_and_or_b32 v6, v7, s17, v6
	v_lshrrev_b32_e32 v10, 8, v5
	v_bfe_u32 v11, v5, 20, 11
	v_cndmask_b32_e64 v4, 0, 1, vcc
	v_cmp_ne_u32_e32 vcc, 0, v6
	v_lshrrev_b32_e32 v12, 8, v7
	v_bfe_u32 v13, v7, 20, 11
	v_sub_u32_e32 v14, 0x3f1, v11
	v_cndmask_b32_e64 v6, 0, 1, vcc
	v_and_or_b32 v4, v10, s10, v4
	v_sub_u32_e32 v15, 0x3f1, v13
	v_med3_i32 v10, v14, 0, 13
	v_and_or_b32 v6, v12, s10, v6
	v_or_b32_e32 v14, 0x1000, v4
	v_add_u32_e32 v11, 0xfffffc10, v11
	v_med3_i32 v12, v15, 0, 13
	v_cmp_ne_u32_e32 vcc, 0, v4
	v_or_b32_e32 v16, 0x1000, v6
	v_lshrrev_b32_e32 v18, v10, v14
	v_add_u32_e32 v13, 0xfffffc10, v13
	v_lshl_or_b32 v15, v11, 12, v4
	v_cndmask_b32_e64 v4, 0, 1, vcc
	v_cmp_ne_u32_e32 vcc, 0, v6
	v_lshrrev_b32_e32 v19, v12, v16
	v_lshlrev_b32_e32 v10, v10, v18
	v_lshl_or_b32 v17, v13, 12, v6
	v_cndmask_b32_e64 v6, 0, 1, vcc
	v_lshlrev_b32_e32 v12, v12, v19
	v_cmp_ne_u32_e32 vcc, v10, v14
	v_cndmask_b32_e64 v10, 0, 1, vcc
	v_cmp_ne_u32_e32 vcc, v12, v16
	v_cndmask_b32_e64 v12, 0, 1, vcc
	v_or_b32_e32 v10, v18, v10
	v_cmp_gt_i32_e32 vcc, 1, v11
	v_cndmask_b32_e32 v10, v15, v10, vcc
	v_or_b32_e32 v12, v19, v12
	v_cmp_gt_i32_e32 vcc, 1, v13
	v_and_b32_e32 v14, 7, v10
	v_cndmask_b32_e32 v12, v17, v12, vcc
	v_cmp_lt_i32_e32 vcc, 5, v14
	v_cmp_eq_u32_e64 s[0:1], 3, v14
	v_lshrrev_b32_e32 v10, 2, v10
	v_and_b32_e32 v15, 7, v12
	s_or_b64 vcc, s[0:1], vcc
	v_cmp_lt_i32_e64 s[2:3], 5, v15
	v_cmp_eq_u32_e64 s[4:5], 3, v15
	v_addc_co_u32_e32 v10, vcc, 0, v10, vcc
	v_lshrrev_b32_e32 v12, 2, v12
	s_or_b64 vcc, s[4:5], s[2:3]
	v_addc_co_u32_e32 v12, vcc, 0, v12, vcc
	v_cmp_gt_i32_e32 vcc, 31, v11
	v_cndmask_b32_e32 v10, v2, v10, vcc
	v_cmp_gt_i32_e32 vcc, 31, v13
	v_lshl_or_b32 v4, v4, 9, v2
	v_cndmask_b32_e32 v12, v2, v12, vcc
	v_cmp_eq_u32_e32 vcc, s11, v11
	v_lshrrev_b32_e32 v5, 16, v5
	v_lshl_or_b32 v6, v6, 9, v2
	v_cndmask_b32_e32 v4, v10, v4, vcc
	v_cmp_eq_u32_e32 vcc, s11, v13
	v_lshrrev_b32_e32 v7, 16, v7
	v_cndmask_b32_e32 v6, v12, v6, vcc
	v_and_or_b32 v4, v5, s16, v4
	v_and_or_b32 v5, v7, s16, v6
	v_and_b32_e32 v4, 0xffff, v4
	v_lshl_or_b32 v4, v5, 16, v4
	global_store_dword v[8:9], v4, off
	global_load_dword v6, v3, s[6:7] offset:500
	ds_read2_b32 v[4:5], v37 offset0:125 offset1:139
	s_waitcnt lgkmcnt(0)
	v_lshrrev_b32_e32 v7, 16, v4
	s_waitcnt vmcnt(0)
	v_mul_f16_sdwa v8, v7, v6 dst_sel:DWORD dst_unused:UNUSED_PAD src0_sel:DWORD src1_sel:WORD_1
	v_fma_f16 v8, v4, v6, v8
	v_mul_f16_sdwa v4, v4, v6 dst_sel:DWORD dst_unused:UNUSED_PAD src0_sel:DWORD src1_sel:WORD_1
	v_cvt_f32_f16_e32 v8, v8
	v_fma_f16 v4, v6, v7, -v4
	v_cvt_f32_f16_e32 v4, v4
	v_cvt_f64_f32_e32 v[6:7], v8
	v_cvt_f64_f32_e32 v[8:9], v4
	v_mov_b32_e32 v4, 0x1f4
	v_mul_f64 v[6:7], v[6:7], s[14:15]
	v_mad_u64_u32 v[10:11], s[0:1], s8, v4, v[0:1]
	v_mul_f64 v[8:9], v[8:9], s[14:15]
	s_mul_i32 s0, s9, 0x1f4
	v_add_u32_e32 v11, s0, v11
	v_and_or_b32 v4, v7, s17, v6
	v_cmp_ne_u32_e32 vcc, 0, v4
	v_lshrrev_b32_e32 v6, 8, v7
	v_and_or_b32 v8, v9, s17, v8
	v_bfe_u32 v12, v7, 20, 11
	v_cndmask_b32_e64 v4, 0, 1, vcc
	v_cmp_ne_u32_e32 vcc, 0, v8
	v_lshrrev_b32_e32 v13, 8, v9
	v_bfe_u32 v14, v9, 20, 11
	v_sub_u32_e32 v15, 0x3f1, v12
	v_cndmask_b32_e64 v8, 0, 1, vcc
	v_and_or_b32 v4, v6, s10, v4
	v_sub_u32_e32 v16, 0x3f1, v14
	v_med3_i32 v6, v15, 0, 13
	v_and_or_b32 v8, v13, s10, v8
	v_or_b32_e32 v15, 0x1000, v4
	v_add_u32_e32 v12, 0xfffffc10, v12
	v_med3_i32 v13, v16, 0, 13
	v_cmp_ne_u32_e32 vcc, 0, v4
	v_or_b32_e32 v17, 0x1000, v8
	v_lshrrev_b32_e32 v19, v6, v15
	v_add_u32_e32 v14, 0xfffffc10, v14
	v_lshl_or_b32 v16, v12, 12, v4
	v_cndmask_b32_e64 v4, 0, 1, vcc
	v_cmp_ne_u32_e32 vcc, 0, v8
	v_lshrrev_b32_e32 v20, v13, v17
	v_lshlrev_b32_e32 v6, v6, v19
	v_lshl_or_b32 v18, v14, 12, v8
	v_cndmask_b32_e64 v8, 0, 1, vcc
	v_lshlrev_b32_e32 v13, v13, v20
	v_cmp_ne_u32_e32 vcc, v6, v15
	v_cndmask_b32_e64 v6, 0, 1, vcc
	v_cmp_ne_u32_e32 vcc, v13, v17
	v_cndmask_b32_e64 v13, 0, 1, vcc
	v_or_b32_e32 v6, v19, v6
	v_cmp_gt_i32_e32 vcc, 1, v12
	v_cndmask_b32_e32 v6, v16, v6, vcc
	v_or_b32_e32 v13, v20, v13
	v_cmp_gt_i32_e32 vcc, 1, v14
	v_and_b32_e32 v15, 7, v6
	v_cndmask_b32_e32 v13, v18, v13, vcc
	v_cmp_lt_i32_e32 vcc, 5, v15
	v_cmp_eq_u32_e64 s[0:1], 3, v15
	v_lshrrev_b32_e32 v6, 2, v6
	v_and_b32_e32 v16, 7, v13
	s_or_b64 vcc, s[0:1], vcc
	v_cmp_lt_i32_e64 s[2:3], 5, v16
	v_cmp_eq_u32_e64 s[4:5], 3, v16
	v_addc_co_u32_e32 v6, vcc, 0, v6, vcc
	v_lshrrev_b32_e32 v13, 2, v13
	s_or_b64 vcc, s[4:5], s[2:3]
	v_addc_co_u32_e32 v13, vcc, 0, v13, vcc
	v_cmp_gt_i32_e32 vcc, 31, v12
	v_cndmask_b32_e32 v6, v2, v6, vcc
	v_cmp_gt_i32_e32 vcc, 31, v14
	v_lshl_or_b32 v4, v4, 9, v2
	v_cndmask_b32_e32 v13, v2, v13, vcc
	v_cmp_eq_u32_e32 vcc, s11, v12
	v_lshrrev_b32_e32 v7, 16, v7
	v_lshl_or_b32 v8, v8, 9, v2
	v_cndmask_b32_e32 v4, v6, v4, vcc
	v_cmp_eq_u32_e32 vcc, s11, v14
	v_lshrrev_b32_e32 v9, 16, v9
	v_cndmask_b32_e32 v6, v13, v8, vcc
	v_and_or_b32 v4, v7, s16, v4
	v_and_or_b32 v6, v9, s16, v6
	v_and_b32_e32 v4, 0xffff, v4
	v_lshl_or_b32 v4, v6, 16, v4
	global_store_dword v[10:11], v4, off
	global_load_dword v4, v3, s[6:7] offset:556
	v_lshrrev_b32_e32 v6, 16, v5
	v_mov_b32_e32 v8, 0x22c
	v_mad_u64_u32 v[8:9], s[0:1], s8, v8, v[0:1]
	s_mul_i32 s0, s9, 0x22c
	v_add_u32_e32 v9, s0, v9
	s_waitcnt vmcnt(0)
	v_mul_f16_sdwa v7, v6, v4 dst_sel:DWORD dst_unused:UNUSED_PAD src0_sel:DWORD src1_sel:WORD_1
	v_fma_f16 v7, v5, v4, v7
	v_mul_f16_sdwa v5, v5, v4 dst_sel:DWORD dst_unused:UNUSED_PAD src0_sel:DWORD src1_sel:WORD_1
	v_cvt_f32_f16_e32 v7, v7
	v_fma_f16 v4, v4, v6, -v5
	v_cvt_f32_f16_e32 v6, v4
	v_cvt_f64_f32_e32 v[4:5], v7
	v_cvt_f64_f32_e32 v[6:7], v6
	v_mul_f64 v[4:5], v[4:5], s[14:15]
	v_mul_f64 v[6:7], v[6:7], s[14:15]
	v_and_or_b32 v4, v5, s17, v4
	v_cmp_ne_u32_e32 vcc, 0, v4
	v_and_or_b32 v6, v7, s17, v6
	v_lshrrev_b32_e32 v10, 8, v5
	v_bfe_u32 v11, v5, 20, 11
	v_cndmask_b32_e64 v4, 0, 1, vcc
	v_cmp_ne_u32_e32 vcc, 0, v6
	v_lshrrev_b32_e32 v12, 8, v7
	v_bfe_u32 v13, v7, 20, 11
	v_sub_u32_e32 v14, 0x3f1, v11
	v_cndmask_b32_e64 v6, 0, 1, vcc
	v_and_or_b32 v4, v10, s10, v4
	v_sub_u32_e32 v15, 0x3f1, v13
	v_med3_i32 v10, v14, 0, 13
	v_and_or_b32 v6, v12, s10, v6
	v_or_b32_e32 v14, 0x1000, v4
	v_add_u32_e32 v11, 0xfffffc10, v11
	v_med3_i32 v12, v15, 0, 13
	v_cmp_ne_u32_e32 vcc, 0, v4
	v_or_b32_e32 v16, 0x1000, v6
	v_lshrrev_b32_e32 v18, v10, v14
	v_add_u32_e32 v13, 0xfffffc10, v13
	v_lshl_or_b32 v15, v11, 12, v4
	v_cndmask_b32_e64 v4, 0, 1, vcc
	v_cmp_ne_u32_e32 vcc, 0, v6
	v_lshrrev_b32_e32 v19, v12, v16
	v_lshlrev_b32_e32 v10, v10, v18
	v_lshl_or_b32 v17, v13, 12, v6
	v_cndmask_b32_e64 v6, 0, 1, vcc
	v_lshlrev_b32_e32 v12, v12, v19
	v_cmp_ne_u32_e32 vcc, v10, v14
	v_cndmask_b32_e64 v10, 0, 1, vcc
	v_cmp_ne_u32_e32 vcc, v12, v16
	v_cndmask_b32_e64 v12, 0, 1, vcc
	v_or_b32_e32 v10, v18, v10
	v_cmp_gt_i32_e32 vcc, 1, v11
	v_cndmask_b32_e32 v10, v15, v10, vcc
	v_or_b32_e32 v12, v19, v12
	v_cmp_gt_i32_e32 vcc, 1, v13
	v_and_b32_e32 v14, 7, v10
	v_cndmask_b32_e32 v12, v17, v12, vcc
	v_cmp_lt_i32_e32 vcc, 5, v14
	v_cmp_eq_u32_e64 s[0:1], 3, v14
	v_lshrrev_b32_e32 v10, 2, v10
	v_and_b32_e32 v15, 7, v12
	s_or_b64 vcc, s[0:1], vcc
	v_cmp_lt_i32_e64 s[2:3], 5, v15
	v_cmp_eq_u32_e64 s[4:5], 3, v15
	v_addc_co_u32_e32 v10, vcc, 0, v10, vcc
	v_lshrrev_b32_e32 v12, 2, v12
	s_or_b64 vcc, s[4:5], s[2:3]
	v_addc_co_u32_e32 v12, vcc, 0, v12, vcc
	v_cmp_gt_i32_e32 vcc, 31, v11
	v_cndmask_b32_e32 v10, v2, v10, vcc
	v_cmp_gt_i32_e32 vcc, 31, v13
	v_lshl_or_b32 v4, v4, 9, v2
	v_cndmask_b32_e32 v12, v2, v12, vcc
	v_cmp_eq_u32_e32 vcc, s11, v11
	v_lshrrev_b32_e32 v5, 16, v5
	v_lshl_or_b32 v6, v6, 9, v2
	v_cndmask_b32_e32 v4, v10, v4, vcc
	v_cmp_eq_u32_e32 vcc, s11, v13
	v_lshrrev_b32_e32 v7, 16, v7
	v_cndmask_b32_e32 v6, v12, v6, vcc
	v_and_or_b32 v4, v5, s16, v4
	v_and_or_b32 v5, v7, s16, v6
	v_and_b32_e32 v4, 0xffff, v4
	v_lshl_or_b32 v4, v5, 16, v4
	global_store_dword v[8:9], v4, off
	global_load_dword v6, v3, s[6:7] offset:612
	ds_read2_b32 v[4:5], v37 offset0:153 offset1:167
	s_waitcnt lgkmcnt(0)
	v_lshrrev_b32_e32 v7, 16, v4
	s_waitcnt vmcnt(0)
	v_mul_f16_sdwa v8, v7, v6 dst_sel:DWORD dst_unused:UNUSED_PAD src0_sel:DWORD src1_sel:WORD_1
	v_fma_f16 v8, v4, v6, v8
	v_mul_f16_sdwa v4, v4, v6 dst_sel:DWORD dst_unused:UNUSED_PAD src0_sel:DWORD src1_sel:WORD_1
	v_cvt_f32_f16_e32 v8, v8
	v_fma_f16 v4, v6, v7, -v4
	v_cvt_f32_f16_e32 v4, v4
	v_cvt_f64_f32_e32 v[6:7], v8
	v_cvt_f64_f32_e32 v[8:9], v4
	v_mov_b32_e32 v4, 0x264
	v_mul_f64 v[6:7], v[6:7], s[14:15]
	v_mad_u64_u32 v[10:11], s[0:1], s8, v4, v[0:1]
	v_mul_f64 v[8:9], v[8:9], s[14:15]
	s_mul_i32 s0, s9, 0x264
	v_add_u32_e32 v11, s0, v11
	v_and_or_b32 v4, v7, s17, v6
	v_cmp_ne_u32_e32 vcc, 0, v4
	v_lshrrev_b32_e32 v6, 8, v7
	v_and_or_b32 v8, v9, s17, v8
	v_bfe_u32 v12, v7, 20, 11
	v_cndmask_b32_e64 v4, 0, 1, vcc
	v_cmp_ne_u32_e32 vcc, 0, v8
	v_lshrrev_b32_e32 v13, 8, v9
	v_bfe_u32 v14, v9, 20, 11
	v_sub_u32_e32 v15, 0x3f1, v12
	v_cndmask_b32_e64 v8, 0, 1, vcc
	v_and_or_b32 v4, v6, s10, v4
	v_sub_u32_e32 v16, 0x3f1, v14
	v_med3_i32 v6, v15, 0, 13
	v_and_or_b32 v8, v13, s10, v8
	v_or_b32_e32 v15, 0x1000, v4
	v_add_u32_e32 v12, 0xfffffc10, v12
	v_med3_i32 v13, v16, 0, 13
	v_cmp_ne_u32_e32 vcc, 0, v4
	v_or_b32_e32 v17, 0x1000, v8
	v_lshrrev_b32_e32 v19, v6, v15
	v_add_u32_e32 v14, 0xfffffc10, v14
	v_lshl_or_b32 v16, v12, 12, v4
	v_cndmask_b32_e64 v4, 0, 1, vcc
	v_cmp_ne_u32_e32 vcc, 0, v8
	v_lshrrev_b32_e32 v20, v13, v17
	v_lshlrev_b32_e32 v6, v6, v19
	v_lshl_or_b32 v18, v14, 12, v8
	v_cndmask_b32_e64 v8, 0, 1, vcc
	v_lshlrev_b32_e32 v13, v13, v20
	v_cmp_ne_u32_e32 vcc, v6, v15
	v_cndmask_b32_e64 v6, 0, 1, vcc
	v_cmp_ne_u32_e32 vcc, v13, v17
	v_cndmask_b32_e64 v13, 0, 1, vcc
	v_or_b32_e32 v6, v19, v6
	v_cmp_gt_i32_e32 vcc, 1, v12
	v_cndmask_b32_e32 v6, v16, v6, vcc
	v_or_b32_e32 v13, v20, v13
	v_cmp_gt_i32_e32 vcc, 1, v14
	v_and_b32_e32 v15, 7, v6
	v_cndmask_b32_e32 v13, v18, v13, vcc
	v_cmp_lt_i32_e32 vcc, 5, v15
	v_cmp_eq_u32_e64 s[0:1], 3, v15
	v_lshrrev_b32_e32 v6, 2, v6
	v_and_b32_e32 v16, 7, v13
	s_or_b64 vcc, s[0:1], vcc
	v_cmp_lt_i32_e64 s[2:3], 5, v16
	v_cmp_eq_u32_e64 s[4:5], 3, v16
	v_addc_co_u32_e32 v6, vcc, 0, v6, vcc
	v_lshrrev_b32_e32 v13, 2, v13
	s_or_b64 vcc, s[4:5], s[2:3]
	v_addc_co_u32_e32 v13, vcc, 0, v13, vcc
	v_cmp_gt_i32_e32 vcc, 31, v12
	v_cndmask_b32_e32 v6, v2, v6, vcc
	v_cmp_gt_i32_e32 vcc, 31, v14
	v_lshl_or_b32 v4, v4, 9, v2
	v_cndmask_b32_e32 v13, v2, v13, vcc
	v_cmp_eq_u32_e32 vcc, s11, v12
	v_lshrrev_b32_e32 v7, 16, v7
	v_lshl_or_b32 v8, v8, 9, v2
	v_cndmask_b32_e32 v4, v6, v4, vcc
	v_cmp_eq_u32_e32 vcc, s11, v14
	v_lshrrev_b32_e32 v9, 16, v9
	v_cndmask_b32_e32 v6, v13, v8, vcc
	v_and_or_b32 v4, v7, s16, v4
	v_and_or_b32 v6, v9, s16, v6
	v_and_b32_e32 v4, 0xffff, v4
	v_lshl_or_b32 v4, v6, 16, v4
	global_store_dword v[10:11], v4, off
	global_load_dword v4, v3, s[6:7] offset:668
	v_lshrrev_b32_e32 v6, 16, v5
	v_mov_b32_e32 v8, 0x29c
	v_mad_u64_u32 v[8:9], s[0:1], s8, v8, v[0:1]
	s_mul_i32 s0, s9, 0x29c
	v_add_u32_e32 v9, s0, v9
	s_waitcnt vmcnt(0)
	v_mul_f16_sdwa v7, v6, v4 dst_sel:DWORD dst_unused:UNUSED_PAD src0_sel:DWORD src1_sel:WORD_1
	v_fma_f16 v7, v5, v4, v7
	v_mul_f16_sdwa v5, v5, v4 dst_sel:DWORD dst_unused:UNUSED_PAD src0_sel:DWORD src1_sel:WORD_1
	v_cvt_f32_f16_e32 v7, v7
	v_fma_f16 v4, v4, v6, -v5
	v_cvt_f32_f16_e32 v6, v4
	v_cvt_f64_f32_e32 v[4:5], v7
	v_cvt_f64_f32_e32 v[6:7], v6
	v_mul_f64 v[4:5], v[4:5], s[14:15]
	v_mul_f64 v[6:7], v[6:7], s[14:15]
	v_and_or_b32 v4, v5, s17, v4
	v_cmp_ne_u32_e32 vcc, 0, v4
	v_and_or_b32 v6, v7, s17, v6
	v_lshrrev_b32_e32 v10, 8, v5
	v_bfe_u32 v11, v5, 20, 11
	v_cndmask_b32_e64 v4, 0, 1, vcc
	v_cmp_ne_u32_e32 vcc, 0, v6
	v_lshrrev_b32_e32 v12, 8, v7
	v_bfe_u32 v13, v7, 20, 11
	v_sub_u32_e32 v14, 0x3f1, v11
	v_cndmask_b32_e64 v6, 0, 1, vcc
	v_and_or_b32 v4, v10, s10, v4
	v_sub_u32_e32 v15, 0x3f1, v13
	v_med3_i32 v10, v14, 0, 13
	v_and_or_b32 v6, v12, s10, v6
	v_or_b32_e32 v14, 0x1000, v4
	v_add_u32_e32 v11, 0xfffffc10, v11
	v_med3_i32 v12, v15, 0, 13
	v_cmp_ne_u32_e32 vcc, 0, v4
	v_or_b32_e32 v16, 0x1000, v6
	v_lshrrev_b32_e32 v18, v10, v14
	v_add_u32_e32 v13, 0xfffffc10, v13
	v_lshl_or_b32 v15, v11, 12, v4
	v_cndmask_b32_e64 v4, 0, 1, vcc
	v_cmp_ne_u32_e32 vcc, 0, v6
	v_lshrrev_b32_e32 v19, v12, v16
	v_lshlrev_b32_e32 v10, v10, v18
	v_lshl_or_b32 v17, v13, 12, v6
	v_cndmask_b32_e64 v6, 0, 1, vcc
	v_lshlrev_b32_e32 v12, v12, v19
	v_cmp_ne_u32_e32 vcc, v10, v14
	v_cndmask_b32_e64 v10, 0, 1, vcc
	v_cmp_ne_u32_e32 vcc, v12, v16
	v_cndmask_b32_e64 v12, 0, 1, vcc
	v_or_b32_e32 v10, v18, v10
	v_cmp_gt_i32_e32 vcc, 1, v11
	v_cndmask_b32_e32 v10, v15, v10, vcc
	v_or_b32_e32 v12, v19, v12
	v_cmp_gt_i32_e32 vcc, 1, v13
	v_and_b32_e32 v14, 7, v10
	v_cndmask_b32_e32 v12, v17, v12, vcc
	v_cmp_lt_i32_e32 vcc, 5, v14
	v_cmp_eq_u32_e64 s[0:1], 3, v14
	v_lshrrev_b32_e32 v10, 2, v10
	v_and_b32_e32 v15, 7, v12
	s_or_b64 vcc, s[0:1], vcc
	v_cmp_lt_i32_e64 s[2:3], 5, v15
	v_cmp_eq_u32_e64 s[4:5], 3, v15
	v_addc_co_u32_e32 v10, vcc, 0, v10, vcc
	v_lshrrev_b32_e32 v12, 2, v12
	s_or_b64 vcc, s[4:5], s[2:3]
	v_addc_co_u32_e32 v12, vcc, 0, v12, vcc
	v_cmp_gt_i32_e32 vcc, 31, v11
	v_cndmask_b32_e32 v10, v2, v10, vcc
	v_cmp_gt_i32_e32 vcc, 31, v13
	v_lshl_or_b32 v4, v4, 9, v2
	v_cndmask_b32_e32 v12, v2, v12, vcc
	v_cmp_eq_u32_e32 vcc, s11, v11
	v_lshrrev_b32_e32 v5, 16, v5
	v_lshl_or_b32 v6, v6, 9, v2
	v_cndmask_b32_e32 v4, v10, v4, vcc
	v_cmp_eq_u32_e32 vcc, s11, v13
	v_lshrrev_b32_e32 v7, 16, v7
	v_cndmask_b32_e32 v6, v12, v6, vcc
	v_and_or_b32 v4, v5, s16, v4
	v_and_or_b32 v5, v7, s16, v6
	v_and_b32_e32 v4, 0xffff, v4
	v_lshl_or_b32 v4, v5, 16, v4
	global_store_dword v[8:9], v4, off
	global_load_dword v3, v3, s[6:7] offset:724
	ds_read_b32 v4, v37 offset:724
	v_mov_b32_e32 v7, 0x2d4
	v_mad_u64_u32 v[0:1], s[0:1], s8, v7, v[0:1]
	s_mul_i32 s6, s9, 0x2d4
	s_waitcnt lgkmcnt(0)
	v_lshrrev_b32_e32 v5, 16, v4
	v_add_u32_e32 v1, s6, v1
	s_waitcnt vmcnt(0)
	v_mul_f16_sdwa v6, v5, v3 dst_sel:DWORD dst_unused:UNUSED_PAD src0_sel:DWORD src1_sel:WORD_1
	v_fma_f16 v6, v4, v3, v6
	v_mul_f16_sdwa v4, v4, v3 dst_sel:DWORD dst_unused:UNUSED_PAD src0_sel:DWORD src1_sel:WORD_1
	v_cvt_f32_f16_e32 v6, v6
	v_fma_f16 v3, v3, v5, -v4
	v_cvt_f32_f16_e32 v5, v3
	v_cvt_f64_f32_e32 v[3:4], v6
	v_cvt_f64_f32_e32 v[5:6], v5
	v_mul_f64 v[3:4], v[3:4], s[14:15]
	v_mul_f64 v[5:6], v[5:6], s[14:15]
	v_and_or_b32 v3, v4, s17, v3
	v_cmp_ne_u32_e32 vcc, 0, v3
	v_and_or_b32 v5, v6, s17, v5
	v_lshrrev_b32_e32 v7, 8, v4
	v_bfe_u32 v8, v4, 20, 11
	v_cndmask_b32_e64 v3, 0, 1, vcc
	v_cmp_ne_u32_e32 vcc, 0, v5
	v_lshrrev_b32_e32 v9, 8, v6
	v_bfe_u32 v10, v6, 20, 11
	v_sub_u32_e32 v11, 0x3f1, v8
	v_cndmask_b32_e64 v5, 0, 1, vcc
	v_and_or_b32 v3, v7, s10, v3
	v_sub_u32_e32 v12, 0x3f1, v10
	v_med3_i32 v7, v11, 0, 13
	v_and_or_b32 v5, v9, s10, v5
	v_or_b32_e32 v11, 0x1000, v3
	v_add_u32_e32 v8, 0xfffffc10, v8
	v_med3_i32 v9, v12, 0, 13
	v_cmp_ne_u32_e32 vcc, 0, v3
	v_or_b32_e32 v13, 0x1000, v5
	v_lshrrev_b32_e32 v15, v7, v11
	v_add_u32_e32 v10, 0xfffffc10, v10
	v_lshl_or_b32 v12, v8, 12, v3
	v_cndmask_b32_e64 v3, 0, 1, vcc
	v_cmp_ne_u32_e32 vcc, 0, v5
	v_lshrrev_b32_e32 v16, v9, v13
	v_lshlrev_b32_e32 v7, v7, v15
	v_lshl_or_b32 v14, v10, 12, v5
	v_cndmask_b32_e64 v5, 0, 1, vcc
	v_lshlrev_b32_e32 v9, v9, v16
	v_cmp_ne_u32_e32 vcc, v7, v11
	v_cndmask_b32_e64 v7, 0, 1, vcc
	v_cmp_ne_u32_e32 vcc, v9, v13
	v_cndmask_b32_e64 v9, 0, 1, vcc
	v_or_b32_e32 v7, v15, v7
	v_cmp_gt_i32_e32 vcc, 1, v8
	v_cndmask_b32_e32 v7, v12, v7, vcc
	v_or_b32_e32 v9, v16, v9
	v_cmp_gt_i32_e32 vcc, 1, v10
	v_and_b32_e32 v11, 7, v7
	v_cndmask_b32_e32 v9, v14, v9, vcc
	v_cmp_lt_i32_e32 vcc, 5, v11
	v_cmp_eq_u32_e64 s[0:1], 3, v11
	v_lshrrev_b32_e32 v7, 2, v7
	v_and_b32_e32 v12, 7, v9
	s_or_b64 vcc, s[0:1], vcc
	v_cmp_lt_i32_e64 s[2:3], 5, v12
	v_cmp_eq_u32_e64 s[4:5], 3, v12
	v_addc_co_u32_e32 v7, vcc, 0, v7, vcc
	v_lshrrev_b32_e32 v9, 2, v9
	s_or_b64 vcc, s[4:5], s[2:3]
	v_addc_co_u32_e32 v9, vcc, 0, v9, vcc
	v_cmp_gt_i32_e32 vcc, 31, v8
	v_cndmask_b32_e32 v7, v2, v7, vcc
	v_cmp_gt_i32_e32 vcc, 31, v10
	v_lshl_or_b32 v3, v3, 9, v2
	v_lshl_or_b32 v5, v5, 9, v2
	v_cndmask_b32_e32 v2, v2, v9, vcc
	v_cmp_eq_u32_e32 vcc, s11, v8
	v_lshrrev_b32_e32 v4, 16, v4
	v_cndmask_b32_e32 v3, v7, v3, vcc
	v_cmp_eq_u32_e32 vcc, s11, v10
	v_lshrrev_b32_e32 v6, 16, v6
	v_cndmask_b32_e32 v2, v2, v5, vcc
	v_and_or_b32 v3, v4, s16, v3
	v_and_or_b32 v2, v6, s16, v2
	v_and_b32_e32 v3, 0xffff, v3
	v_lshl_or_b32 v2, v2, 16, v3
	global_store_dword v[0:1], v2, off
.LBB0_15:
	s_endpgm
	.section	.rodata,"a",@progbits
	.p2align	6, 0x0
	.amdhsa_kernel bluestein_single_back_len182_dim1_half_op_CI_CI
		.amdhsa_group_segment_fixed_size 2912
		.amdhsa_private_segment_fixed_size 0
		.amdhsa_kernarg_size 104
		.amdhsa_user_sgpr_count 6
		.amdhsa_user_sgpr_private_segment_buffer 1
		.amdhsa_user_sgpr_dispatch_ptr 0
		.amdhsa_user_sgpr_queue_ptr 0
		.amdhsa_user_sgpr_kernarg_segment_ptr 1
		.amdhsa_user_sgpr_dispatch_id 0
		.amdhsa_user_sgpr_flat_scratch_init 0
		.amdhsa_user_sgpr_private_segment_size 0
		.amdhsa_uses_dynamic_stack 0
		.amdhsa_system_sgpr_private_segment_wavefront_offset 0
		.amdhsa_system_sgpr_workgroup_id_x 1
		.amdhsa_system_sgpr_workgroup_id_y 0
		.amdhsa_system_sgpr_workgroup_id_z 0
		.amdhsa_system_sgpr_workgroup_info 0
		.amdhsa_system_vgpr_workitem_id 0
		.amdhsa_next_free_vgpr 164
		.amdhsa_next_free_sgpr 31
		.amdhsa_reserve_vcc 1
		.amdhsa_reserve_flat_scratch 0
		.amdhsa_float_round_mode_32 0
		.amdhsa_float_round_mode_16_64 0
		.amdhsa_float_denorm_mode_32 3
		.amdhsa_float_denorm_mode_16_64 3
		.amdhsa_dx10_clamp 1
		.amdhsa_ieee_mode 1
		.amdhsa_fp16_overflow 0
		.amdhsa_exception_fp_ieee_invalid_op 0
		.amdhsa_exception_fp_denorm_src 0
		.amdhsa_exception_fp_ieee_div_zero 0
		.amdhsa_exception_fp_ieee_overflow 0
		.amdhsa_exception_fp_ieee_underflow 0
		.amdhsa_exception_fp_ieee_inexact 0
		.amdhsa_exception_int_div_zero 0
	.end_amdhsa_kernel
	.text
.Lfunc_end0:
	.size	bluestein_single_back_len182_dim1_half_op_CI_CI, .Lfunc_end0-bluestein_single_back_len182_dim1_half_op_CI_CI
                                        ; -- End function
	.section	.AMDGPU.csdata,"",@progbits
; Kernel info:
; codeLenInByte = 35244
; NumSgprs: 35
; NumVgprs: 164
; ScratchSize: 0
; MemoryBound: 0
; FloatMode: 240
; IeeeMode: 1
; LDSByteSize: 2912 bytes/workgroup (compile time only)
; SGPRBlocks: 4
; VGPRBlocks: 40
; NumSGPRsForWavesPerEU: 35
; NumVGPRsForWavesPerEU: 164
; Occupancy: 1
; WaveLimiterHint : 1
; COMPUTE_PGM_RSRC2:SCRATCH_EN: 0
; COMPUTE_PGM_RSRC2:USER_SGPR: 6
; COMPUTE_PGM_RSRC2:TRAP_HANDLER: 0
; COMPUTE_PGM_RSRC2:TGID_X_EN: 1
; COMPUTE_PGM_RSRC2:TGID_Y_EN: 0
; COMPUTE_PGM_RSRC2:TGID_Z_EN: 0
; COMPUTE_PGM_RSRC2:TIDIG_COMP_CNT: 0
	.type	__hip_cuid_2ce642cb6a4eac14,@object ; @__hip_cuid_2ce642cb6a4eac14
	.section	.bss,"aw",@nobits
	.globl	__hip_cuid_2ce642cb6a4eac14
__hip_cuid_2ce642cb6a4eac14:
	.byte	0                               ; 0x0
	.size	__hip_cuid_2ce642cb6a4eac14, 1

	.ident	"AMD clang version 19.0.0git (https://github.com/RadeonOpenCompute/llvm-project roc-6.4.0 25133 c7fe45cf4b819c5991fe208aaa96edf142730f1d)"
	.section	".note.GNU-stack","",@progbits
	.addrsig
	.addrsig_sym __hip_cuid_2ce642cb6a4eac14
	.amdgpu_metadata
---
amdhsa.kernels:
  - .args:
      - .actual_access:  read_only
        .address_space:  global
        .offset:         0
        .size:           8
        .value_kind:     global_buffer
      - .actual_access:  read_only
        .address_space:  global
        .offset:         8
        .size:           8
        .value_kind:     global_buffer
      - .actual_access:  read_only
        .address_space:  global
        .offset:         16
        .size:           8
        .value_kind:     global_buffer
      - .actual_access:  read_only
        .address_space:  global
        .offset:         24
        .size:           8
        .value_kind:     global_buffer
      - .actual_access:  read_only
        .address_space:  global
        .offset:         32
        .size:           8
        .value_kind:     global_buffer
      - .offset:         40
        .size:           8
        .value_kind:     by_value
      - .address_space:  global
        .offset:         48
        .size:           8
        .value_kind:     global_buffer
      - .address_space:  global
        .offset:         56
        .size:           8
        .value_kind:     global_buffer
      - .address_space:  global
        .offset:         64
        .size:           8
        .value_kind:     global_buffer
      - .address_space:  global
        .offset:         72
        .size:           8
        .value_kind:     global_buffer
      - .offset:         80
        .size:           4
        .value_kind:     by_value
      - .address_space:  global
        .offset:         88
        .size:           8
        .value_kind:     global_buffer
      - .address_space:  global
        .offset:         96
        .size:           8
        .value_kind:     global_buffer
    .group_segment_fixed_size: 2912
    .kernarg_segment_align: 8
    .kernarg_segment_size: 104
    .language:       OpenCL C
    .language_version:
      - 2
      - 0
    .max_flat_workgroup_size: 52
    .name:           bluestein_single_back_len182_dim1_half_op_CI_CI
    .private_segment_fixed_size: 0
    .sgpr_count:     35
    .sgpr_spill_count: 0
    .symbol:         bluestein_single_back_len182_dim1_half_op_CI_CI.kd
    .uniform_work_group_size: 1
    .uses_dynamic_stack: false
    .vgpr_count:     164
    .vgpr_spill_count: 0
    .wavefront_size: 64
amdhsa.target:   amdgcn-amd-amdhsa--gfx906
amdhsa.version:
  - 1
  - 2
...

	.end_amdgpu_metadata
